;; amdgpu-corpus repo=ROCm/rocFFT kind=compiled arch=gfx1030 opt=O3
	.text
	.amdgcn_target "amdgcn-amd-amdhsa--gfx1030"
	.amdhsa_code_object_version 6
	.protected	fft_rtc_back_len2560_factors_4_4_4_10_4_wgs_128_tpt_128_halfLds_half_ip_CI_unitstride_sbrr_R2C_dirReg ; -- Begin function fft_rtc_back_len2560_factors_4_4_4_10_4_wgs_128_tpt_128_halfLds_half_ip_CI_unitstride_sbrr_R2C_dirReg
	.globl	fft_rtc_back_len2560_factors_4_4_4_10_4_wgs_128_tpt_128_halfLds_half_ip_CI_unitstride_sbrr_R2C_dirReg
	.p2align	8
	.type	fft_rtc_back_len2560_factors_4_4_4_10_4_wgs_128_tpt_128_halfLds_half_ip_CI_unitstride_sbrr_R2C_dirReg,@function
fft_rtc_back_len2560_factors_4_4_4_10_4_wgs_128_tpt_128_halfLds_half_ip_CI_unitstride_sbrr_R2C_dirReg: ; @fft_rtc_back_len2560_factors_4_4_4_10_4_wgs_128_tpt_128_halfLds_half_ip_CI_unitstride_sbrr_R2C_dirReg
; %bb.0:
	s_clause 0x2
	s_load_dwordx4 s[8:11], s[4:5], 0x0
	s_load_dwordx2 s[2:3], s[4:5], 0x50
	s_load_dwordx2 s[12:13], s[4:5], 0x18
	v_mov_b32_e32 v3, 0
	v_mov_b32_e32 v1, 0
	v_mov_b32_e32 v5, s6
	v_mov_b32_e32 v2, 0
	v_mov_b32_e32 v6, v3
	s_waitcnt lgkmcnt(0)
	v_cmp_lt_u64_e64 s0, s[10:11], 2
	s_and_b32 vcc_lo, exec_lo, s0
	s_cbranch_vccnz .LBB0_8
; %bb.1:
	s_load_dwordx2 s[0:1], s[4:5], 0x10
	v_mov_b32_e32 v1, 0
	s_add_u32 s6, s12, 8
	v_mov_b32_e32 v2, 0
	s_addc_u32 s7, s13, 0
	s_mov_b64 s[16:17], 1
	s_waitcnt lgkmcnt(0)
	s_add_u32 s14, s0, 8
	s_addc_u32 s15, s1, 0
.LBB0_2:                                ; =>This Inner Loop Header: Depth=1
	s_load_dwordx2 s[18:19], s[14:15], 0x0
                                        ; implicit-def: $vgpr7_vgpr8
	s_mov_b32 s0, exec_lo
	s_waitcnt lgkmcnt(0)
	v_or_b32_e32 v4, s19, v6
	v_cmpx_ne_u64_e32 0, v[3:4]
	s_xor_b32 s1, exec_lo, s0
	s_cbranch_execz .LBB0_4
; %bb.3:                                ;   in Loop: Header=BB0_2 Depth=1
	v_cvt_f32_u32_e32 v4, s18
	v_cvt_f32_u32_e32 v7, s19
	s_sub_u32 s0, 0, s18
	s_subb_u32 s20, 0, s19
	v_fmac_f32_e32 v4, 0x4f800000, v7
	v_rcp_f32_e32 v4, v4
	v_mul_f32_e32 v4, 0x5f7ffffc, v4
	v_mul_f32_e32 v7, 0x2f800000, v4
	v_trunc_f32_e32 v7, v7
	v_fmac_f32_e32 v4, 0xcf800000, v7
	v_cvt_u32_f32_e32 v7, v7
	v_cvt_u32_f32_e32 v4, v4
	v_mul_lo_u32 v8, s0, v7
	v_mul_hi_u32 v9, s0, v4
	v_mul_lo_u32 v10, s20, v4
	v_add_nc_u32_e32 v8, v9, v8
	v_mul_lo_u32 v9, s0, v4
	v_add_nc_u32_e32 v8, v8, v10
	v_mul_hi_u32 v10, v4, v9
	v_mul_lo_u32 v11, v4, v8
	v_mul_hi_u32 v12, v4, v8
	v_mul_hi_u32 v13, v7, v9
	v_mul_lo_u32 v9, v7, v9
	v_mul_hi_u32 v14, v7, v8
	v_mul_lo_u32 v8, v7, v8
	v_add_co_u32 v10, vcc_lo, v10, v11
	v_add_co_ci_u32_e32 v11, vcc_lo, 0, v12, vcc_lo
	v_add_co_u32 v9, vcc_lo, v10, v9
	v_add_co_ci_u32_e32 v9, vcc_lo, v11, v13, vcc_lo
	v_add_co_ci_u32_e32 v10, vcc_lo, 0, v14, vcc_lo
	v_add_co_u32 v8, vcc_lo, v9, v8
	v_add_co_ci_u32_e32 v9, vcc_lo, 0, v10, vcc_lo
	v_add_co_u32 v4, vcc_lo, v4, v8
	v_add_co_ci_u32_e32 v7, vcc_lo, v7, v9, vcc_lo
	v_mul_hi_u32 v8, s0, v4
	v_mul_lo_u32 v10, s20, v4
	v_mul_lo_u32 v9, s0, v7
	v_add_nc_u32_e32 v8, v8, v9
	v_mul_lo_u32 v9, s0, v4
	v_add_nc_u32_e32 v8, v8, v10
	v_mul_hi_u32 v10, v4, v9
	v_mul_lo_u32 v11, v4, v8
	v_mul_hi_u32 v12, v4, v8
	v_mul_hi_u32 v13, v7, v9
	v_mul_lo_u32 v9, v7, v9
	v_mul_hi_u32 v14, v7, v8
	v_mul_lo_u32 v8, v7, v8
	v_add_co_u32 v10, vcc_lo, v10, v11
	v_add_co_ci_u32_e32 v11, vcc_lo, 0, v12, vcc_lo
	v_add_co_u32 v9, vcc_lo, v10, v9
	v_add_co_ci_u32_e32 v9, vcc_lo, v11, v13, vcc_lo
	v_add_co_ci_u32_e32 v10, vcc_lo, 0, v14, vcc_lo
	v_add_co_u32 v8, vcc_lo, v9, v8
	v_add_co_ci_u32_e32 v9, vcc_lo, 0, v10, vcc_lo
	v_add_co_u32 v4, vcc_lo, v4, v8
	v_add_co_ci_u32_e32 v11, vcc_lo, v7, v9, vcc_lo
	v_mul_hi_u32 v13, v5, v4
	v_mad_u64_u32 v[9:10], null, v6, v4, 0
	v_mad_u64_u32 v[7:8], null, v5, v11, 0
	;; [unrolled: 1-line block ×3, first 2 shown]
	v_add_co_u32 v4, vcc_lo, v13, v7
	v_add_co_ci_u32_e32 v7, vcc_lo, 0, v8, vcc_lo
	v_add_co_u32 v4, vcc_lo, v4, v9
	v_add_co_ci_u32_e32 v4, vcc_lo, v7, v10, vcc_lo
	v_add_co_ci_u32_e32 v7, vcc_lo, 0, v12, vcc_lo
	v_add_co_u32 v4, vcc_lo, v4, v11
	v_add_co_ci_u32_e32 v9, vcc_lo, 0, v7, vcc_lo
	v_mul_lo_u32 v10, s19, v4
	v_mad_u64_u32 v[7:8], null, s18, v4, 0
	v_mul_lo_u32 v11, s18, v9
	v_sub_co_u32 v7, vcc_lo, v5, v7
	v_add3_u32 v8, v8, v11, v10
	v_sub_nc_u32_e32 v10, v6, v8
	v_subrev_co_ci_u32_e64 v10, s0, s19, v10, vcc_lo
	v_add_co_u32 v11, s0, v4, 2
	v_add_co_ci_u32_e64 v12, s0, 0, v9, s0
	v_sub_co_u32 v13, s0, v7, s18
	v_sub_co_ci_u32_e32 v8, vcc_lo, v6, v8, vcc_lo
	v_subrev_co_ci_u32_e64 v10, s0, 0, v10, s0
	v_cmp_le_u32_e32 vcc_lo, s18, v13
	v_cmp_eq_u32_e64 s0, s19, v8
	v_cndmask_b32_e64 v13, 0, -1, vcc_lo
	v_cmp_le_u32_e32 vcc_lo, s19, v10
	v_cndmask_b32_e64 v14, 0, -1, vcc_lo
	v_cmp_le_u32_e32 vcc_lo, s18, v7
	;; [unrolled: 2-line block ×3, first 2 shown]
	v_cndmask_b32_e64 v15, 0, -1, vcc_lo
	v_cmp_eq_u32_e32 vcc_lo, s19, v10
	v_cndmask_b32_e64 v7, v15, v7, s0
	v_cndmask_b32_e32 v10, v14, v13, vcc_lo
	v_add_co_u32 v13, vcc_lo, v4, 1
	v_add_co_ci_u32_e32 v14, vcc_lo, 0, v9, vcc_lo
	v_cmp_ne_u32_e32 vcc_lo, 0, v10
	v_cndmask_b32_e32 v8, v14, v12, vcc_lo
	v_cndmask_b32_e32 v10, v13, v11, vcc_lo
	v_cmp_ne_u32_e32 vcc_lo, 0, v7
	v_cndmask_b32_e32 v8, v9, v8, vcc_lo
	v_cndmask_b32_e32 v7, v4, v10, vcc_lo
.LBB0_4:                                ;   in Loop: Header=BB0_2 Depth=1
	s_andn2_saveexec_b32 s0, s1
	s_cbranch_execz .LBB0_6
; %bb.5:                                ;   in Loop: Header=BB0_2 Depth=1
	v_cvt_f32_u32_e32 v4, s18
	s_sub_i32 s1, 0, s18
	v_rcp_iflag_f32_e32 v4, v4
	v_mul_f32_e32 v4, 0x4f7ffffe, v4
	v_cvt_u32_f32_e32 v4, v4
	v_mul_lo_u32 v7, s1, v4
	v_mul_hi_u32 v7, v4, v7
	v_add_nc_u32_e32 v4, v4, v7
	v_mul_hi_u32 v4, v5, v4
	v_mul_lo_u32 v7, v4, s18
	v_add_nc_u32_e32 v8, 1, v4
	v_sub_nc_u32_e32 v7, v5, v7
	v_subrev_nc_u32_e32 v9, s18, v7
	v_cmp_le_u32_e32 vcc_lo, s18, v7
	v_cndmask_b32_e32 v7, v7, v9, vcc_lo
	v_cndmask_b32_e32 v4, v4, v8, vcc_lo
	v_cmp_le_u32_e32 vcc_lo, s18, v7
	v_add_nc_u32_e32 v8, 1, v4
	v_cndmask_b32_e32 v7, v4, v8, vcc_lo
	v_mov_b32_e32 v8, v3
.LBB0_6:                                ;   in Loop: Header=BB0_2 Depth=1
	s_or_b32 exec_lo, exec_lo, s0
	s_load_dwordx2 s[0:1], s[6:7], 0x0
	v_mul_lo_u32 v4, v8, s18
	v_mul_lo_u32 v11, v7, s19
	v_mad_u64_u32 v[9:10], null, v7, s18, 0
	s_add_u32 s16, s16, 1
	s_addc_u32 s17, s17, 0
	s_add_u32 s6, s6, 8
	s_addc_u32 s7, s7, 0
	;; [unrolled: 2-line block ×3, first 2 shown]
	v_add3_u32 v4, v10, v11, v4
	v_sub_co_u32 v5, vcc_lo, v5, v9
	v_sub_co_ci_u32_e32 v4, vcc_lo, v6, v4, vcc_lo
	s_waitcnt lgkmcnt(0)
	v_mul_lo_u32 v6, s1, v5
	v_mul_lo_u32 v4, s0, v4
	v_mad_u64_u32 v[1:2], null, s0, v5, v[1:2]
	v_cmp_ge_u64_e64 s0, s[16:17], s[10:11]
	s_and_b32 vcc_lo, exec_lo, s0
	v_add3_u32 v2, v6, v2, v4
	s_cbranch_vccnz .LBB0_9
; %bb.7:                                ;   in Loop: Header=BB0_2 Depth=1
	v_mov_b32_e32 v5, v7
	v_mov_b32_e32 v6, v8
	s_branch .LBB0_2
.LBB0_8:
	v_mov_b32_e32 v8, v6
	v_mov_b32_e32 v7, v5
.LBB0_9:
	s_lshl_b64 s[0:1], s[10:11], 3
	v_or_b32_e32 v11, 0x80, v0
	s_add_u32 s0, s12, s0
	s_addc_u32 s1, s13, s1
	v_or_b32_e32 v15, 0x100, v0
	s_load_dwordx2 s[0:1], s[0:1], 0x0
	s_load_dwordx2 s[4:5], s[4:5], 0x20
	v_or_b32_e32 v14, 0x180, v0
	v_or_b32_e32 v13, 0x200, v0
	s_waitcnt lgkmcnt(0)
	v_mul_lo_u32 v3, s0, v8
	v_mul_lo_u32 v4, s1, v7
	v_mad_u64_u32 v[1:2], null, s0, v7, v[1:2]
	v_cmp_gt_u64_e32 vcc_lo, s[4:5], v[7:8]
	v_cmp_le_u64_e64 s0, s[4:5], v[7:8]
	v_add3_u32 v2, v4, v2, v3
	s_and_saveexec_b32 s1, s0
	s_xor_b32 s0, exec_lo, s1
; %bb.10:
	v_or_b32_e32 v11, 0x80, v0
	v_or_b32_e32 v15, 0x100, v0
	;; [unrolled: 1-line block ×4, first 2 shown]
; %bb.11:
	s_or_saveexec_b32 s1, s0
	v_lshlrev_b64 v[9:10], 2, v[1:2]
	v_lshlrev_b32_e32 v18, 2, v0
	s_xor_b32 exec_lo, exec_lo, s1
	s_cbranch_execz .LBB0_13
; %bb.12:
	v_add_co_u32 v12, s0, s2, v9
	v_add_co_ci_u32_e64 v32, s0, s3, v10, s0
	v_lshlrev_b32_e32 v3, 2, v13
	v_add_co_u32 v1, s0, v12, v18
	v_or_b32_e32 v5, 0xa00, v18
	v_add_co_ci_u32_e64 v2, s0, 0, v32, s0
	v_add_co_u32 v3, s0, v12, v3
	v_or_b32_e32 v7, 0xc00, v18
	v_add_co_ci_u32_e64 v4, s0, 0, v32, s0
	;; [unrolled: 3-line block ×3, first 2 shown]
	v_add_co_u32 v7, s0, v12, v7
	v_add_co_ci_u32_e64 v8, s0, 0, v32, s0
	v_or_b32_e32 v19, 0x1000, v18
	v_add_co_u32 v16, s0, v12, v33
	v_add_co_ci_u32_e64 v17, s0, 0, v32, s0
	s_clause 0x7
	global_load_dword v34, v[1:2], off
	global_load_dword v35, v[1:2], off offset:512
	global_load_dword v36, v[1:2], off offset:1024
	global_load_dword v37, v[1:2], off offset:1536
	global_load_dword v38, v[3:4], off
	global_load_dword v39, v[5:6], off
	;; [unrolled: 1-line block ×4, first 2 shown]
	v_or_b32_e32 v3, 0x1200, v18
	v_add_co_u32 v1, s0, v12, v19
	v_or_b32_e32 v5, 0x1400, v18
	v_add_co_ci_u32_e64 v2, s0, 0, v32, s0
	v_add_co_u32 v3, s0, v12, v3
	v_or_b32_e32 v7, 0x1600, v18
	v_add_co_ci_u32_e64 v4, s0, 0, v32, s0
	;; [unrolled: 3-line block ×10, first 2 shown]
	v_add_co_u32 v29, s0, v12, v29
	v_add_co_ci_u32_e64 v30, s0, 0, v32, s0
	v_add_co_u32 v31, s0, v12, v31
	v_add_co_ci_u32_e64 v32, s0, 0, v32, s0
	s_clause 0xb
	global_load_dword v1, v[1:2], off
	global_load_dword v2, v[3:4], off
	;; [unrolled: 1-line block ×12, first 2 shown]
	v_add_nc_u32_e32 v20, 0, v18
	v_add_nc_u32_e32 v21, 0, v33
	;; [unrolled: 1-line block ×3, first 2 shown]
	s_waitcnt vmcnt(18)
	ds_write2st64_b32 v20, v34, v35 offset1:2
	s_waitcnt vmcnt(16)
	ds_write2st64_b32 v20, v36, v37 offset0:4 offset1:6
	s_waitcnt vmcnt(14)
	ds_write2st64_b32 v20, v38, v39 offset0:8 offset1:10
	s_waitcnt vmcnt(12)
	ds_write_b32 v21, v41
	s_waitcnt vmcnt(11)
	ds_write2st64_b32 v20, v40, v1 offset0:12 offset1:16
	s_waitcnt vmcnt(9)
	ds_write2st64_b32 v20, v2, v3 offset0:18 offset1:20
	;; [unrolled: 2-line block ×4, first 2 shown]
	s_waitcnt vmcnt(4)
	ds_write_b32 v22, v8
	s_waitcnt vmcnt(2)
	ds_write2st64_b32 v20, v12, v16 offset0:32 offset1:34
	s_waitcnt vmcnt(0)
	ds_write2st64_b32 v20, v17, v19 offset0:36 offset1:38
.LBB0_13:
	s_or_b32 exec_lo, exec_lo, s1
	v_add_nc_u32_e32 v19, 0, v18
	s_waitcnt lgkmcnt(0)
	s_barrier
	buffer_gl0_inv
	v_lshl_add_u32 v23, v11, 4, 0
	ds_read2st64_b32 v[1:2], v19 offset0:8 offset1:10
	ds_read2st64_b32 v[3:4], v19 offset0:16 offset1:18
	;; [unrolled: 1-line block ×8, first 2 shown]
	ds_read2st64_b32 v[30:31], v19 offset1:2
	ds_read2st64_b32 v[32:33], v19 offset0:20 offset1:22
	v_mad_u32_u24 v12, v0, 12, v19
	s_waitcnt lgkmcnt(0)
	s_barrier
	buffer_gl0_inv
	v_lshl_add_u32 v22, v15, 4, 0
	v_lshl_add_u32 v21, v14, 4, 0
	;; [unrolled: 1-line block ×3, first 2 shown]
	s_add_u32 s4, s8, 0x27f0
	s_addc_u32 s5, s9, 0
	v_pk_add_f16 v5, v1, v5 neg_lo:[0,1] neg_hi:[0,1]
	v_pk_add_f16 v8, v4, v8 neg_lo:[0,1] neg_hi:[0,1]
	v_pk_add_f16 v6, v2, v6 neg_lo:[0,1] neg_hi:[0,1]
	v_pk_add_f16 v25, v17, v25 neg_lo:[0,1] neg_hi:[0,1]
	v_pk_add_f16 v24, v16, v24 neg_lo:[0,1] neg_hi:[0,1]
	v_alignbit_b32 v36, s0, v5, 16
	v_pk_add_f16 v32, v30, v32 neg_lo:[0,1] neg_hi:[0,1]
	v_pk_add_f16 v7, v3, v7 neg_lo:[0,1] neg_hi:[0,1]
	v_pk_add_f16 v29, v27, v29 neg_lo:[0,1] neg_hi:[0,1]
	v_pk_fma_f16 v4, v4, 2.0, v8 op_sel_hi:[1,0,1] neg_lo:[0,0,1] neg_hi:[0,0,1]
	v_alignbit_b32 v34, s0, v8, 16
	v_pk_add_f16 v8, v36, v8 neg_lo:[0,1] neg_hi:[0,1]
	v_alignbit_b32 v36, s0, v25, 16
	v_alignbit_b32 v39, s0, v24, 16
	v_pk_add_f16 v33, v31, v33 neg_lo:[0,1] neg_hi:[0,1]
	v_pk_add_f16 v28, v26, v28 neg_lo:[0,1] neg_hi:[0,1]
	v_alignbit_b32 v41, s0, v6, 16
	v_alignbit_b32 v43, s0, v32, 16
	v_pk_fma_f16 v3, v3, 2.0, v7 op_sel_hi:[1,0,1] neg_lo:[0,0,1] neg_hi:[0,0,1]
	v_alignbit_b32 v37, s0, v7, 16
	v_pk_fma_f16 v27, v27, 2.0, v29 op_sel_hi:[1,0,1] neg_lo:[0,0,1] neg_hi:[0,0,1]
	v_pk_add_f16 v7, v36, v7 neg_lo:[0,1] neg_hi:[0,1]
	v_alignbit_b32 v36, s0, v29, 16
	v_pk_add_f16 v29, v39, v29 neg_lo:[0,1] neg_hi:[0,1]
	v_alignbit_b32 v39, s0, v28, 16
	v_alignbit_b32 v42, s0, v33, 16
	v_pk_fma_f16 v30, v30, 2.0, v32 op_sel_hi:[1,0,1] neg_lo:[0,0,1] neg_hi:[0,0,1]
	v_pk_fma_f16 v2, v2, 2.0, v6 op_sel_hi:[1,0,1] neg_lo:[0,0,1] neg_hi:[0,0,1]
	v_pk_add_f16 v41, v32, v41
	v_lshrrev_b32_e32 v44, 16, v32
	v_pk_add_f16 v6, v43, v6 neg_lo:[0,1] neg_hi:[0,1]
	v_pk_fma_f16 v31, v31, 2.0, v33 op_sel_hi:[1,0,1] neg_lo:[0,0,1] neg_hi:[0,0,1]
	v_pk_fma_f16 v26, v26, 2.0, v28 op_sel_hi:[1,0,1] neg_lo:[0,0,1] neg_hi:[0,0,1]
	v_pk_add_f16 v39, v33, v39
	v_lshrrev_b32_e32 v43, 16, v33
	v_pk_add_f16 v28, v42, v28 neg_lo:[0,1] neg_hi:[0,1]
	v_pk_add_f16 v2, v30, v2 neg_lo:[0,1] neg_hi:[0,1]
	v_fma_f16 v32, v32, 2.0, -v41
	v_fma_f16 v42, v44, 2.0, -v6
	v_pk_fma_f16 v16, v16, 2.0, v24 op_sel_hi:[1,0,1] neg_lo:[0,0,1] neg_hi:[0,0,1]
	v_pk_add_f16 v36, v24, v36
	v_lshrrev_b32_e32 v40, 16, v24
	v_pk_add_f16 v26, v31, v26 neg_lo:[0,1] neg_hi:[0,1]
	v_fma_f16 v33, v33, 2.0, -v39
	v_fma_f16 v43, v43, 2.0, -v28
	v_pk_fma_f16 v30, v30, 2.0, v2 op_sel_hi:[1,0,1] neg_lo:[0,0,1] neg_hi:[0,0,1]
	v_pack_b32_f16 v32, v32, v42
	v_pk_add_f16 v27, v16, v27 neg_lo:[0,1] neg_hi:[0,1]
	v_fma_f16 v24, v24, 2.0, -v36
	v_fma_f16 v40, v40, 2.0, -v29
	v_pk_fma_f16 v17, v17, 2.0, v25 op_sel_hi:[1,0,1] neg_lo:[0,0,1] neg_hi:[0,0,1]
	v_pk_add_f16 v37, v25, v37
	v_lshrrev_b32_e32 v38, 16, v25
	v_pk_fma_f16 v31, v31, 2.0, v26 op_sel_hi:[1,0,1] neg_lo:[0,0,1] neg_hi:[0,0,1]
	v_pack_b32_f16 v6, v41, v6
	ds_write2_b32 v12, v30, v32 offset1:1
	v_pack_b32_f16 v30, v33, v43
	v_pack_b32_f16 v28, v39, v28
	v_pk_fma_f16 v1, v1, 2.0, v5 op_sel_hi:[1,0,1] neg_lo:[0,0,1] neg_hi:[0,0,1]
	v_lshrrev_b32_e32 v35, 16, v5
	v_pk_add_f16 v34, v5, v34
	v_pk_fma_f16 v16, v16, 2.0, v27 op_sel_hi:[1,0,1] neg_lo:[0,0,1] neg_hi:[0,0,1]
	v_pack_b32_f16 v24, v24, v40
	v_pk_add_f16 v3, v17, v3 neg_lo:[0,1] neg_hi:[0,1]
	v_fma_f16 v25, v25, 2.0, -v37
	v_fma_f16 v38, v38, 2.0, -v7
	ds_write2_b32 v12, v2, v6 offset0:2 offset1:3
	v_pack_b32_f16 v2, v36, v29
	ds_write2_b32 v23, v31, v30 offset1:1
	ds_write2_b32 v23, v26, v28 offset0:2 offset1:3
	ds_write2_b32 v22, v16, v24 offset1:1
	v_and_b32_e32 v16, 3, v0
	v_pk_add_f16 v4, v1, v4 neg_lo:[0,1] neg_hi:[0,1]
	v_fma_f16 v5, v5, 2.0, -v34
	v_fma_f16 v35, v35, 2.0, -v8
	v_pk_fma_f16 v17, v17, 2.0, v3 op_sel_hi:[1,0,1] neg_lo:[0,0,1] neg_hi:[0,0,1]
	ds_write2_b32 v22, v27, v2 offset0:2 offset1:3
	v_pack_b32_f16 v2, v25, v38
	v_pack_b32_f16 v6, v37, v7
	v_mul_u32_u24_e32 v7, 3, v16
	v_pk_fma_f16 v1, v1, 2.0, v4 op_sel_hi:[1,0,1] neg_lo:[0,0,1] neg_hi:[0,0,1]
	v_pack_b32_f16 v5, v5, v35
	v_pack_b32_f16 v8, v34, v8
	ds_write2_b32 v21, v17, v2 offset1:1
	ds_write2_b32 v21, v3, v6 offset0:2 offset1:3
	ds_write2_b32 v20, v1, v5 offset1:1
	v_lshlrev_b32_e32 v1, 2, v7
	v_lshlrev_b32_e32 v5, 2, v11
	ds_write2_b32 v20, v4, v8 offset0:2 offset1:3
	s_waitcnt lgkmcnt(0)
	s_barrier
	buffer_gl0_inv
	global_load_dwordx3 v[1:3], v1, s[8:9]
	v_lshlrev_b32_e32 v4, 2, v15
	v_lshlrev_b32_e32 v6, 2, v14
	;; [unrolled: 1-line block ×3, first 2 shown]
	v_and_b32_e32 v8, 15, v0
	v_and_or_b32 v17, 0x1f0, v18, v16
	v_and_or_b32 v27, 0x3f0, v5, v16
	;; [unrolled: 1-line block ×5, first 2 shown]
	v_mul_u32_u24_e32 v36, 3, v8
	v_lshl_add_u32 v41, v17, 2, 0
	v_lshl_add_u32 v42, v27, 2, 0
	ds_read2st64_b32 v[16:17], v19 offset0:20 offset1:22
	ds_read2st64_b32 v[27:28], v19 offset0:32 offset1:34
	;; [unrolled: 1-line block ×4, first 2 shown]
	v_lshl_add_u32 v43, v33, 2, 0
	v_lshl_add_u32 v44, v34, 2, 0
	ds_read2st64_b32 v[33:34], v19 offset0:16 offset1:18
	v_mad_i32_i24 v24, v14, -12, v21
	v_mad_i32_i24 v12, v13, -12, v20
	;; [unrolled: 1-line block ×4, first 2 shown]
	v_lshl_add_u32 v45, v35, 2, 0
	v_lshlrev_b32_e32 v46, 2, v36
	ds_read2st64_b32 v[35:36], v19 offset0:28 offset1:30
	ds_read2st64_b32 v[37:38], v19 offset0:36 offset1:38
	ds_read2st64_b32 v[39:40], v19 offset1:10
	ds_read_b32 v47, v24
	ds_read_b32 v48, v12
	;; [unrolled: 1-line block ×4, first 2 shown]
	ds_read_u16 v51, v19 offset:3074
	s_waitcnt vmcnt(0) lgkmcnt(0)
	s_barrier
	buffer_gl0_inv
	v_lshrrev_b32_e32 v52, 16, v17
	v_lshrrev_b32_e32 v53, 16, v27
	;; [unrolled: 1-line block ×19, first 2 shown]
	v_mul_f16_sdwa v71, v2, v57 dst_sel:DWORD dst_unused:UNUSED_PAD src0_sel:WORD_1 src1_sel:DWORD
	v_mul_f16_sdwa v72, v2, v16 dst_sel:DWORD dst_unused:UNUSED_PAD src0_sel:WORD_1 src1_sel:DWORD
	v_mul_f16_sdwa v73, v51, v1 dst_sel:DWORD dst_unused:UNUSED_PAD src0_sel:DWORD src1_sel:WORD_1
	v_mul_f16_sdwa v74, v1, v29 dst_sel:DWORD dst_unused:UNUSED_PAD src0_sel:WORD_1 src1_sel:DWORD
	v_mul_f16_sdwa v75, v52, v2 dst_sel:DWORD dst_unused:UNUSED_PAD src0_sel:DWORD src1_sel:WORD_1
	v_mul_f16_sdwa v76, v17, v2 dst_sel:DWORD dst_unused:UNUSED_PAD src0_sel:DWORD src1_sel:WORD_1
	;; [unrolled: 1-line block ×13, first 2 shown]
	v_mul_f16_sdwa v90, v3, v61 dst_sel:DWORD dst_unused:UNUSED_PAD src0_sel:WORD_1 src1_sel:DWORD
	v_mul_f16_sdwa v91, v62, v2 dst_sel:DWORD dst_unused:UNUSED_PAD src0_sel:DWORD src1_sel:WORD_1
	v_mul_f16_sdwa v92, v34, v1 dst_sel:DWORD dst_unused:UNUSED_PAD src0_sel:DWORD src1_sel:WORD_1
	v_mul_f16_sdwa v93, v3, v36 dst_sel:DWORD dst_unused:UNUSED_PAD src0_sel:WORD_1 src1_sel:DWORD
	v_mul_f16_sdwa v97, v37, v3 dst_sel:DWORD dst_unused:UNUSED_PAD src0_sel:DWORD src1_sel:WORD_1
	v_mul_f16_sdwa v99, v1, v40 dst_sel:DWORD dst_unused:UNUSED_PAD src0_sel:WORD_1 src1_sel:DWORD
	v_mul_f16_sdwa v100, v1, v65 dst_sel:DWORD dst_unused:UNUSED_PAD src0_sel:WORD_1 src1_sel:DWORD
	v_mul_f16_sdwa v88, v32, v2 dst_sel:DWORD dst_unused:UNUSED_PAD src0_sel:DWORD src1_sel:WORD_1
	v_mul_f16_sdwa v95, v63, v3 dst_sel:DWORD dst_unused:UNUSED_PAD src0_sel:DWORD src1_sel:WORD_1
	;; [unrolled: 1-line block ×6, first 2 shown]
	v_fmac_f16_e32 v71, v2, v16
	v_fmac_f16_e32 v75, v17, v2
	;; [unrolled: 1-line block ×12, first 2 shown]
	v_fma_f16 v16, v2, v57, -v72
	v_fma_f16 v17, v3, v61, -v93
	;; [unrolled: 1-line block ×10, first 2 shown]
	v_fmac_f16_e32 v100, v1, v40
	v_fma_f16 v1, v1, v65, -v99
	v_fmac_f16_e32 v95, v37, v3
	v_fma_f16 v34, v59, v2, -v88
	v_fma_f16 v31, v55, v2, -v82
	v_fmac_f16_e32 v96, v38, v3
	v_fma_f16 v3, v64, v3, -v98
	v_fma_f16 v2, v62, v2, -v94
	v_sub_f16_e32 v37, v39, v71
	v_sub_f16_e32 v38, v100, v90
	;; [unrolled: 1-line block ×20, first 2 shown]
	v_fma_f16 v39, v39, 2.0, -v37
	v_fma_f16 v58, v100, 2.0, -v38
	v_add_f16_e32 v59, v37, v17
	v_sub_f16_e32 v38, v16, v38
	v_fma_f16 v1, v1, 2.0, -v17
	v_fma_f16 v17, v66, 2.0, -v16
	;; [unrolled: 1-line block ×4, first 2 shown]
	v_add_f16_e32 v29, v40, v29
	v_sub_f16_e32 v51, v28, v51
	v_fma_f16 v30, v30, 2.0, -v32
	v_add_f16_e32 v32, v52, v32
	v_fma_f16 v33, v33, 2.0, -v35
	v_add_f16_e32 v35, v54, v35
	v_fma_f16 v50, v50, 2.0, -v40
	v_fma_f16 v60, v67, 2.0, -v28
	v_fma_f16 v65, v86, 2.0, -v55
	v_sub_f16_e32 v55, v34, v55
	v_fma_f16 v62, v79, 2.0, -v53
	v_sub_f16_e32 v53, v31, v53
	v_fma_f16 v49, v49, 2.0, -v52
	v_fma_f16 v63, v68, 2.0, -v31
	;; [unrolled: 1-line block ×3, first 2 shown]
	v_add_f16_e32 v3, v56, v3
	v_fma_f16 v47, v47, 2.0, -v54
	v_fma_f16 v64, v69, 2.0, -v34
	v_fma_f16 v66, v87, 2.0, -v57
	v_sub_f16_e32 v57, v2, v57
	v_fma_f16 v48, v48, 2.0, -v56
	v_fma_f16 v67, v70, 2.0, -v2
	;; [unrolled: 1-line block ×6, first 2 shown]
	v_pack_b32_f16 v29, v29, v51
	v_fma_f16 v51, v52, 2.0, -v32
	v_fma_f16 v52, v54, 2.0, -v35
	v_sub_f16_e32 v54, v39, v58
	v_sub_f16_e32 v1, v17, v1
	v_fma_f16 v34, v34, 2.0, -v55
	v_pack_b32_f16 v35, v35, v55
	v_sub_f16_e32 v55, v50, v61
	v_sub_f16_e32 v27, v60, v27
	v_fma_f16 v31, v31, 2.0, -v53
	v_pack_b32_f16 v32, v32, v53
	v_fma_f16 v53, v56, 2.0, -v3
	v_sub_f16_e32 v56, v49, v62
	v_sub_f16_e32 v30, v63, v30
	v_fma_f16 v2, v2, 2.0, -v57
	v_pack_b32_f16 v3, v3, v57
	v_sub_f16_e32 v57, v47, v65
	v_sub_f16_e32 v33, v64, v33
	;; [unrolled: 1-line block ×4, first 2 shown]
	v_pack_b32_f16 v16, v37, v16
	v_fma_f16 v37, v39, 2.0, -v54
	v_fma_f16 v17, v17, 2.0, -v1
	v_pack_b32_f16 v38, v59, v38
	v_pack_b32_f16 v1, v54, v1
	;; [unrolled: 1-line block ×3, first 2 shown]
	v_fma_f16 v39, v50, 2.0, -v55
	v_fma_f16 v40, v60, 2.0, -v27
	;; [unrolled: 1-line block ×4, first 2 shown]
	v_pack_b32_f16 v31, v51, v31
	v_fma_f16 v47, v47, 2.0, -v57
	v_fma_f16 v51, v64, 2.0, -v33
	;; [unrolled: 1-line block ×4, first 2 shown]
	v_pack_b32_f16 v17, v37, v17
	ds_write2_b32 v41, v1, v38 offset0:8 offset1:12
	v_pack_b32_f16 v1, v39, v40
	v_pack_b32_f16 v27, v55, v27
	;; [unrolled: 1-line block ×10, first 2 shown]
	ds_write2_b32 v41, v17, v16 offset1:4
	ds_write2_b32 v42, v1, v28 offset1:4
	ds_write2_b32 v42, v27, v29 offset0:8 offset1:12
	ds_write2_b32 v43, v37, v31 offset1:4
	ds_write2_b32 v43, v30, v32 offset0:8 offset1:12
	;; [unrolled: 2-line block ×4, first 2 shown]
	s_waitcnt lgkmcnt(0)
	s_barrier
	buffer_gl0_inv
	global_load_dwordx3 v[1:3], v46, s[8:9] offset:48
	v_and_b32_e32 v27, 63, v0
	v_and_or_b32 v28, 0x3c0, v5, v8
	v_and_or_b32 v5, 0x1c0, v18, v8
	;; [unrolled: 1-line block ×4, first 2 shown]
	v_mul_u32_u24_e32 v34, 9, v27
	v_and_or_b32 v8, 0x9c0, v7, v8
	v_lshl_add_u32 v38, v5, 2, 0
	ds_read2st64_b32 v[4:5], v19 offset0:32 offset1:34
	ds_read2st64_b32 v[6:7], v19 offset0:12 offset1:14
	;; [unrolled: 1-line block ×3, first 2 shown]
	v_lshl_add_u32 v39, v28, 2, 0
	ds_read2st64_b32 v[28:29], v19 offset0:16 offset1:18
	ds_read2st64_b32 v[30:31], v19 offset0:20 offset1:22
	v_lshl_add_u32 v40, v32, 2, 0
	v_lshl_add_u32 v41, v33, 2, 0
	v_lshlrev_b32_e32 v42, 2, v34
	ds_read2st64_b32 v[32:33], v19 offset0:28 offset1:30
	ds_read2st64_b32 v[34:35], v19 offset0:36 offset1:38
	ds_read2st64_b32 v[36:37], v19 offset1:10
	ds_read_b32 v43, v26
	ds_read_b32 v44, v25
	;; [unrolled: 1-line block ×4, first 2 shown]
	s_waitcnt vmcnt(0) lgkmcnt(0)
	s_barrier
	buffer_gl0_inv
	v_lshl_add_u32 v8, v8, 2, 0
	v_lshrrev_b32_e32 v47, 16, v4
	v_lshrrev_b32_e32 v48, 16, v7
	;; [unrolled: 1-line block ×20, first 2 shown]
	v_mul_f16_sdwa v67, v2, v52 dst_sel:DWORD dst_unused:UNUSED_PAD src0_sel:WORD_1 src1_sel:DWORD
	v_mul_f16_sdwa v68, v2, v30 dst_sel:DWORD dst_unused:UNUSED_PAD src0_sel:WORD_1 src1_sel:DWORD
	;; [unrolled: 1-line block ×6, first 2 shown]
	v_mul_f16_sdwa v73, v47, v3 dst_sel:DWORD dst_unused:UNUSED_PAD src0_sel:DWORD src1_sel:WORD_1
	v_mul_f16_sdwa v74, v4, v3 dst_sel:DWORD dst_unused:UNUSED_PAD src0_sel:DWORD src1_sel:WORD_1
	;; [unrolled: 1-line block ×12, first 2 shown]
	v_mul_f16_sdwa v87, v3, v33 dst_sel:DWORD dst_unused:UNUSED_PAD src0_sel:WORD_1 src1_sel:DWORD
	v_mul_f16_sdwa v88, v3, v57 dst_sel:DWORD dst_unused:UNUSED_PAD src0_sel:WORD_1 src1_sel:DWORD
	;; [unrolled: 1-line block ×4, first 2 shown]
	v_mul_f16_sdwa v84, v17, v2 dst_sel:DWORD dst_unused:UNUSED_PAD src0_sel:DWORD src1_sel:WORD_1
	v_mul_f16_sdwa v89, v58, v2 dst_sel:DWORD dst_unused:UNUSED_PAD src0_sel:DWORD src1_sel:WORD_1
	;; [unrolled: 1-line block ×8, first 2 shown]
	v_fmac_f16_e32 v67, v2, v30
	v_fmac_f16_e32 v71, v2, v31
	;; [unrolled: 1-line block ×10, first 2 shown]
	v_fma_f16 v4, v2, v52, -v68
	v_fma_f16 v5, v1, v54, -v70
	;; [unrolled: 1-line block ×5, first 2 shown]
	v_fmac_f16_e32 v88, v3, v33
	v_fma_f16 v17, v48, v1, -v76
	v_fma_f16 v29, v50, v3, -v80
	;; [unrolled: 1-line block ×4, first 2 shown]
	v_fmac_f16_e32 v96, v1, v37
	v_fma_f16 v1, v1, v61, -v95
	v_fmac_f16_e32 v89, v32, v2
	v_fma_f16 v31, v53, v2, -v84
	v_fma_f16 v32, v59, v3, -v91
	v_fmac_f16_e32 v92, v34, v3
	v_fma_f16 v28, v49, v2, -v78
	v_fmac_f16_e32 v93, v35, v3
	v_fma_f16 v2, v58, v2, -v90
	v_fma_f16 v3, v60, v3, -v94
	v_sub_f16_e32 v34, v36, v67
	v_sub_f16_e32 v35, v96, v88
	;; [unrolled: 1-line block ×20, first 2 shown]
	v_fma_f16 v36, v36, 2.0, -v34
	v_fma_f16 v54, v96, 2.0, -v35
	;; [unrolled: 1-line block ×3, first 2 shown]
	v_add_f16_e32 v6, v34, v6
	v_sub_f16_e32 v35, v4, v35
	v_fma_f16 v55, v62, 2.0, -v4
	v_fma_f16 v56, v69, 2.0, -v37
	;; [unrolled: 1-line block ×3, first 2 shown]
	v_add_f16_e32 v16, v47, v16
	v_sub_f16_e32 v37, v7, v37
	v_fma_f16 v17, v17, 2.0, -v29
	v_add_f16_e32 v29, v49, v29
	v_fma_f16 v43, v43, 2.0, -v47
	v_fma_f16 v57, v63, 2.0, -v7
	;; [unrolled: 1-line block ×4, first 2 shown]
	v_add_f16_e32 v32, v51, v32
	v_sub_f16_e32 v50, v31, v50
	v_fma_f16 v58, v75, 2.0, -v48
	v_fma_f16 v44, v44, 2.0, -v49
	;; [unrolled: 1-line block ×3, first 2 shown]
	v_sub_f16_e32 v48, v28, v48
	v_fma_f16 v45, v45, 2.0, -v51
	v_fma_f16 v61, v65, 2.0, -v31
	;; [unrolled: 1-line block ×4, first 2 shown]
	v_add_f16_e32 v3, v53, v3
	v_sub_f16_e32 v52, v2, v52
	v_fma_f16 v46, v46, 2.0, -v53
	v_fma_f16 v63, v66, 2.0, -v2
	;; [unrolled: 1-line block ×4, first 2 shown]
	v_pack_b32_f16 v6, v6, v35
	v_fma_f16 v35, v47, 2.0, -v16
	v_fma_f16 v7, v7, 2.0, -v37
	v_pack_b32_f16 v16, v16, v37
	v_fma_f16 v37, v49, 2.0, -v29
	v_sub_f16_e32 v49, v36, v54
	v_sub_f16_e32 v1, v55, v1
	v_fma_f16 v47, v51, 2.0, -v32
	v_fma_f16 v31, v31, 2.0, -v50
	v_pack_b32_f16 v32, v32, v50
	v_sub_f16_e32 v50, v43, v56
	v_sub_f16_e32 v5, v57, v5
	;; [unrolled: 1-line block ×4, first 2 shown]
	v_fma_f16 v28, v28, 2.0, -v48
	v_pack_b32_f16 v29, v29, v48
	v_fma_f16 v48, v53, 2.0, -v3
	v_fma_f16 v2, v2, 2.0, -v52
	v_pack_b32_f16 v3, v3, v52
	v_sub_f16_e32 v52, v45, v60
	v_sub_f16_e32 v30, v61, v30
	;; [unrolled: 1-line block ×4, first 2 shown]
	v_pack_b32_f16 v4, v34, v4
	v_fma_f16 v34, v36, 2.0, -v49
	v_fma_f16 v36, v55, 2.0, -v1
	;; [unrolled: 1-line block ×4, first 2 shown]
	v_pack_b32_f16 v1, v49, v1
	v_fma_f16 v44, v44, 2.0, -v51
	v_fma_f16 v55, v59, 2.0, -v17
	;; [unrolled: 1-line block ×6, first 2 shown]
	v_pack_b32_f16 v34, v34, v36
	v_pack_b32_f16 v7, v35, v7
	ds_write2_b32 v38, v1, v6 offset0:32 offset1:48
	v_pack_b32_f16 v1, v43, v54
	v_pack_b32_f16 v5, v50, v5
	;; [unrolled: 1-line block ×11, first 2 shown]
	ds_write2_b32 v38, v34, v4 offset1:16
	ds_write2_b32 v39, v1, v7 offset1:16
	ds_write2_b32 v39, v5, v16 offset0:32 offset1:48
	ds_write2_b32 v40, v6, v28 offset1:16
	ds_write2_b32 v40, v17, v29 offset0:32 offset1:48
	;; [unrolled: 2-line block ×4, first 2 shown]
	s_waitcnt lgkmcnt(0)
	s_barrier
	buffer_gl0_inv
	s_clause 0x2
	global_load_dwordx4 v[1:4], v42, s[8:9] offset:240
	global_load_dwordx4 v[5:8], v42, s[8:9] offset:256
	global_load_dword v28, v42, s[8:9] offset:272
	v_mul_u32_u24_e32 v33, 3, v0
	v_mov_b32_e32 v17, 0
	v_mul_i32_i24_e32 v16, 3, v11
	v_lshrrev_b32_e32 v30, 6, v0
	v_lshrrev_b32_e32 v29, 6, v11
	v_lshlrev_b32_e32 v33, 2, v33
	v_lshlrev_b64 v[31:32], 2, v[16:17]
	v_mul_u32_u24_e32 v30, 0x280, v30
	v_mul_i32_i24_e32 v16, 3, v15
	v_add_co_u32 v49, s0, s8, v33
	v_mul_lo_u32 v34, 0x280, v29
	v_add_co_ci_u32_e64 v50, null, s9, 0, s0
	v_add_co_u32 v33, s0, s8, v31
	v_or_b32_e32 v35, v30, v27
	v_lshlrev_b64 v[29:30], 2, v[16:17]
	v_add_co_ci_u32_e64 v36, s0, s9, v32, s0
	v_mul_i32_i24_e32 v16, 3, v14
	v_add_co_u32 v33, s0, 0x800, v33
	v_or_b32_e32 v27, v34, v27
	v_add_co_ci_u32_e64 v34, s0, 0, v36, s0
	v_add_co_u32 v43, s0, s8, v29
	v_lshlrev_b64 v[31:32], 2, v[16:17]
	v_add_co_ci_u32_e64 v44, s0, s9, v30, s0
	v_lshl_add_u32 v51, v35, 2, 0
	ds_read2st64_b32 v[29:30], v19 offset0:18 offset1:20
	ds_read2st64_b32 v[35:36], v19 offset0:22 offset1:24
	;; [unrolled: 1-line block ×4, first 2 shown]
	ds_read_b32 v52, v25
	ds_read2st64_b32 v[41:42], v19 offset0:14 offset1:16
	v_add_co_u32 v43, s0, 0x800, v43
	v_add_co_ci_u32_e64 v44, s0, 0, v44, s0
	ds_read_b32 v53, v12
	ds_read2st64_b32 v[45:46], v19 offset1:6
	v_add_co_u32 v54, s0, s8, v31
	v_add_co_ci_u32_e64 v55, s0, s9, v32, s0
	ds_read2st64_b32 v[31:32], v19 offset0:30 offset1:32
	ds_read2st64_b32 v[47:48], v19 offset0:34 offset1:36
	ds_read_b32 v56, v19 offset:9728
	ds_read_b32 v57, v26
	v_mul_i32_i24_e32 v16, 3, v13
	v_lshl_add_u32 v27, v27, 2, 0
	s_waitcnt vmcnt(0) lgkmcnt(0)
	s_barrier
	v_lshrrev_b32_e32 v58, 16, v30
	v_lshrrev_b32_e32 v59, 16, v36
	;; [unrolled: 1-line block ×20, first 2 shown]
	v_lshlrev_b64 v[16:17], 2, v[16:17]
	buffer_gl0_inv
	v_mul_f16_sdwa v79, v1, v52 dst_sel:DWORD dst_unused:UNUSED_PAD src0_sel:WORD_1 src1_sel:DWORD
	v_mul_f16_sdwa v81, v61, v2 dst_sel:DWORD dst_unused:UNUSED_PAD src0_sel:DWORD src1_sel:WORD_1
	v_mul_f16_sdwa v83, v4, v66 dst_sel:DWORD dst_unused:UNUSED_PAD src0_sel:WORD_1 src1_sel:DWORD
	v_mul_f16_sdwa v84, v63, v3 dst_sel:DWORD dst_unused:UNUSED_PAD src0_sel:DWORD src1_sel:WORD_1
	v_mul_f16_sdwa v78, v1, v62 dst_sel:DWORD dst_unused:UNUSED_PAD src0_sel:WORD_1 src1_sel:DWORD
	v_mul_f16_sdwa v80, v3, v64 dst_sel:DWORD dst_unused:UNUSED_PAD src0_sel:WORD_1 src1_sel:DWORD
	;; [unrolled: 1-line block ×3, first 2 shown]
	v_mul_f16_sdwa v85, v39, v2 dst_sel:DWORD dst_unused:UNUSED_PAD src0_sel:DWORD src1_sel:WORD_1
	v_mul_f16_sdwa v86, v4, v42 dst_sel:DWORD dst_unused:UNUSED_PAD src0_sel:WORD_1 src1_sel:DWORD
	v_mul_f16_sdwa v87, v41, v3 dst_sel:DWORD dst_unused:UNUSED_PAD src0_sel:DWORD src1_sel:WORD_1
	v_mul_f16_sdwa v88, v2, v65 dst_sel:DWORD dst_unused:UNUSED_PAD src0_sel:WORD_1 src1_sel:DWORD
	v_mul_f16_sdwa v89, v2, v53 dst_sel:DWORD dst_unused:UNUSED_PAD src0_sel:WORD_1 src1_sel:DWORD
	v_mul_f16_sdwa v90, v46, v1 dst_sel:DWORD dst_unused:UNUSED_PAD src0_sel:DWORD src1_sel:WORD_1
	v_mul_f16_sdwa v91, v67, v1 dst_sel:DWORD dst_unused:UNUSED_PAD src0_sel:DWORD src1_sel:WORD_1
	v_mul_f16_sdwa v92, v29, v4 dst_sel:DWORD dst_unused:UNUSED_PAD src0_sel:DWORD src1_sel:WORD_1
	v_mul_f16_sdwa v93, v68, v4 dst_sel:DWORD dst_unused:UNUSED_PAD src0_sel:DWORD src1_sel:WORD_1
	v_mul_f16_sdwa v94, v58, v5 dst_sel:DWORD dst_unused:UNUSED_PAD src0_sel:DWORD src1_sel:WORD_1
	v_mul_f16_sdwa v95, v30, v5 dst_sel:DWORD dst_unused:UNUSED_PAD src0_sel:DWORD src1_sel:WORD_1
	v_mul_f16_sdwa v96, v59, v6 dst_sel:DWORD dst_unused:UNUSED_PAD src0_sel:DWORD src1_sel:WORD_1
	v_mul_f16_sdwa v97, v36, v6 dst_sel:DWORD dst_unused:UNUSED_PAD src0_sel:DWORD src1_sel:WORD_1
	v_mul_f16_sdwa v102, v38, v7 dst_sel:DWORD dst_unused:UNUSED_PAD src0_sel:DWORD src1_sel:WORD_1
	v_mul_f16_sdwa v104, v71, v8 dst_sel:DWORD dst_unused:UNUSED_PAD src0_sel:DWORD src1_sel:WORD_1
	v_mul_f16_sdwa v105, v72, v7 dst_sel:DWORD dst_unused:UNUSED_PAD src0_sel:DWORD src1_sel:WORD_1
	v_fmac_f16_e32 v81, v39, v2
	v_mul_f16_sdwa v39, v32, v8 dst_sel:DWORD dst_unused:UNUSED_PAD src0_sel:DWORD src1_sel:WORD_1
	v_fmac_f16_e32 v83, v4, v42
	v_fmac_f16_e32 v84, v41, v3
	v_mul_f16_sdwa v41, v47, v8 dst_sel:DWORD dst_unused:UNUSED_PAD src0_sel:DWORD src1_sel:WORD_1
	v_mul_f16_sdwa v42, v73, v8 dst_sel:DWORD dst_unused:UNUSED_PAD src0_sel:DWORD src1_sel:WORD_1
	v_fma_f16 v62, v1, v62, -v79
	v_mul_f16_sdwa v79, v48, v28 dst_sel:DWORD dst_unused:UNUSED_PAD src0_sel:DWORD src1_sel:WORD_1
	v_mul_f16_sdwa v98, v69, v5 dst_sel:DWORD dst_unused:UNUSED_PAD src0_sel:DWORD src1_sel:WORD_1
	;; [unrolled: 1-line block ×6, first 2 shown]
	v_fmac_f16_e32 v80, v3, v40
	v_mul_f16_sdwa v40, v31, v7 dst_sel:DWORD dst_unused:UNUSED_PAD src0_sel:DWORD src1_sel:WORD_1
	v_fmac_f16_e32 v78, v1, v52
	v_mul_f16_sdwa v52, v74, v28 dst_sel:DWORD dst_unused:UNUSED_PAD src0_sel:DWORD src1_sel:WORD_1
	;; [unrolled: 2-line block ×3, first 2 shown]
	v_fma_f16 v65, v2, v65, -v89
	v_mul_f16_sdwa v89, v56, v28 dst_sel:DWORD dst_unused:UNUSED_PAD src0_sel:DWORD src1_sel:WORD_1
	v_fma_f16 v64, v3, v64, -v82
	v_fma_f16 v66, v4, v66, -v86
	;; [unrolled: 1-line block ×5, first 2 shown]
	v_fmac_f16_e32 v91, v46, v1
	v_fmac_f16_e32 v93, v29, v4
	;; [unrolled: 1-line block ×6, first 2 shown]
	v_fma_f16 v1, v58, v5, -v95
	v_fma_f16 v4, v59, v6, -v97
	;; [unrolled: 1-line block ×5, first 2 shown]
	v_fmac_f16_e32 v42, v47, v8
	v_fma_f16 v8, v74, v28, -v79
	v_fma_f16 v3, v63, v3, -v87
	v_fmac_f16_e32 v98, v35, v5
	v_fmac_f16_e32 v99, v38, v7
	;; [unrolled: 1-line block ×3, first 2 shown]
	v_fma_f16 v5, v69, v5, -v101
	v_fma_f16 v6, v70, v6, -v103
	;; [unrolled: 1-line block ×3, first 2 shown]
	v_fmac_f16_e32 v52, v48, v28
	v_fmac_f16_e32 v53, v56, v28
	v_fma_f16 v28, v75, v28, -v89
	v_add_f16_e32 v48, v1, v29
	v_add_f16_e32 v56, v64, v8
	v_sub_f16_e32 v59, v1, v64
	v_sub_f16_e32 v60, v29, v8
	;; [unrolled: 1-line block ×6, first 2 shown]
	v_add_f16_e32 v72, v66, v4
	v_sub_f16_e32 v73, v66, v65
	v_add_f16_e32 v74, v65, v30
	v_sub_f16_e32 v75, v4, v30
	v_add_f16_e32 v32, v83, v96
	v_add_f16_e32 v35, v88, v104
	v_sub_f16_e32 v37, v83, v88
	v_sub_f16_e32 v38, v96, v104
	v_add_f16_e32 v39, v94, v99
	v_add_f16_e32 v40, v80, v52
	;; [unrolled: 1-line block ×4, first 2 shown]
	v_sub_f16_e32 v79, v80, v94
	v_sub_f16_e32 v82, v52, v99
	v_fma_f16 v48, -0.5, v48, v62
	v_fmac_f16_e32 v62, -0.5, v56
	v_sub_f16_e32 v56, v61, v2
	v_add_f16_e32 v59, v59, v60
	v_sub_f16_e32 v60, v6, v31
	v_add_f16_e32 v63, v63, v68
	;; [unrolled: 2-line block ×3, first 2 shown]
	v_sub_f16_e32 v70, v53, v105
	v_fma_f16 v72, -0.5, v72, v76
	v_fmac_f16_e32 v76, -0.5, v74
	v_add_f16_e32 v74, v98, v105
	v_add_f16_e32 v73, v73, v75
	;; [unrolled: 1-line block ×5, first 2 shown]
	v_sub_f16_e32 v46, v94, v80
	v_sub_f16_e32 v47, v99, v52
	;; [unrolled: 1-line block ×6, first 2 shown]
	v_add_f16_e32 v90, v93, v100
	v_add_f16_e32 v92, v81, v42
	v_sub_f16_e32 v97, v93, v81
	v_sub_f16_e32 v101, v100, v42
	;; [unrolled: 1-line block ×3, first 2 shown]
	v_fma_f16 v32, -0.5, v32, v45
	v_fmac_f16_e32 v45, -0.5, v35
	v_sub_f16_e32 v35, v31, v6
	v_add_f16_e32 v37, v37, v38
	v_add_f16_e32 v38, v61, v6
	v_fma_f16 v39, -0.5, v39, v78
	v_fmac_f16_e32 v78, -0.5, v40
	v_add_f16_e32 v40, v2, v31
	v_add_f16_e32 v79, v79, v82
	;; [unrolled: 1-line block ×6, first 2 shown]
	v_sub_f16_e32 v70, v5, v3
	v_fma_f16 v74, -0.5, v74, v91
	v_fmac_f16_e32 v91, -0.5, v75
	v_sub_f16_e32 v75, v7, v28
	v_add_f16_e32 v95, v57, v81
	v_add_f16_e32 v46, v46, v47
	;; [unrolled: 1-line block ×4, first 2 shown]
	v_sub_f16_e32 v86, v98, v84
	v_add_f16_e32 v87, v87, v89
	v_sub_f16_e32 v89, v105, v53
	v_fma_f16 v90, -0.5, v90, v57
	v_fmac_f16_e32 v57, -0.5, v92
	v_sub_f16_e32 v92, v3, v5
	v_add_f16_e32 v97, v97, v101
	v_sub_f16_e32 v101, v28, v7
	v_add_f16_e32 v35, v102, v35
	v_add_f16_e32 v102, v5, v7
	v_fma_f16 v38, -0.5, v38, v77
	v_fmac_f16_e32 v77, -0.5, v40
	v_add_f16_e32 v40, v3, v28
	v_add_f16_e32 v70, v70, v75
	v_sub_f16_e32 v75, v1, v29
	v_add_f16_e32 v1, v58, v1
	v_sub_f16_e32 v58, v5, v7
	v_sub_f16_e32 v65, v65, v30
	v_add_f16_e32 v5, v60, v5
	v_add_f16_e32 v86, v86, v89
	v_sub_f16_e32 v89, v83, v96
	v_add_f16_e32 v92, v92, v101
	v_sub_f16_e32 v101, v66, v4
	v_fma_f16 v102, -0.5, v102, v67
	v_fmac_f16_e32 v67, -0.5, v40
	v_sub_f16_e32 v40, v94, v99
	v_add_f16_e32 v36, v36, v83
	v_sub_f16_e32 v83, v93, v100
	v_add_f16_e32 v66, v71, v66
	;; [unrolled: 2-line block ×4, first 2 shown]
	v_add_f16_e32 v47, v47, v61
	v_add_f16_e32 v61, v82, v98
	v_add_f16_e32 v5, v5, v7
	v_fmamk_f16 v7, v65, 0xbb9c, v32
	v_fmac_f16_e32 v32, 0x3b9c, v65
	v_sub_f16_e32 v94, v98, v105
	v_sub_f16_e32 v64, v64, v8
	;; [unrolled: 1-line block ×6, first 2 shown]
	v_add_f16_e32 v36, v36, v96
	v_add_f16_e32 v4, v66, v4
	;; [unrolled: 1-line block ×7, first 2 shown]
	v_fmamk_f16 v60, v101, 0x3b9c, v45
	v_fmac_f16_e32 v45, 0xbb9c, v101
	v_fmamk_f16 v95, v80, 0x3b9c, v48
	v_fmac_f16_e32 v48, 0xbb9c, v80
	;; [unrolled: 2-line block ×4, first 2 shown]
	v_fmac_f16_e32 v7, 0xb8b4, v101
	v_fmac_f16_e32 v32, 0x38b4, v101
	v_fmamk_f16 v101, v58, 0x3b9c, v91
	v_fmac_f16_e32 v91, 0xbb9c, v58
	v_sub_f16_e32 v88, v88, v104
	v_fmamk_f16 v82, v64, 0xbb9c, v39
	v_fmac_f16_e32 v39, 0x3b9c, v64
	v_fmamk_f16 v93, v75, 0x3b9c, v78
	v_fmac_f16_e32 v78, 0xbb9c, v75
	v_fmamk_f16 v98, v2, 0xbb9c, v90
	v_fmac_f16_e32 v90, 0x3b9c, v2
	v_fmamk_f16 v100, v81, 0x3b9c, v38
	v_fmac_f16_e32 v38, 0xbb9c, v81
	v_add_f16_e32 v36, v36, v104
	v_fmamk_f16 v104, v3, 0xbb9c, v74
	v_fmac_f16_e32 v74, 0x3b9c, v3
	v_fmac_f16_e32 v45, 0x38b4, v65
	;; [unrolled: 1-line block ×3, first 2 shown]
	v_fmamk_f16 v65, v84, 0x3b9c, v102
	v_fmac_f16_e32 v102, 0xbb9c, v84
	v_add_f16_e32 v4, v4, v30
	v_fmamk_f16 v30, v94, 0xbb9c, v67
	v_fmac_f16_e32 v67, 0x3b9c, v94
	v_add_f16_e32 v1, v1, v8
	v_fmac_f16_e32 v95, 0x38b4, v40
	v_fmac_f16_e32 v48, 0xb8b4, v40
	;; [unrolled: 1-line block ×3, first 2 shown]
	v_add_f16_e32 v8, v29, v42
	v_fmac_f16_e32 v99, 0xb8b4, v2
	v_fmac_f16_e32 v57, 0x38b4, v2
	v_add_f16_e32 v2, v6, v31
	v_add_f16_e32 v6, v47, v53
	v_fmac_f16_e32 v101, 0xb8b4, v3
	v_fmac_f16_e32 v91, 0x38b4, v3
	v_add_f16_e32 v3, v5, v28
	v_add_f16_e32 v41, v41, v52
	v_fmac_f16_e32 v96, 0x38b4, v80
	v_fmamk_f16 v61, v88, 0x3b9c, v72
	v_fmac_f16_e32 v82, 0xb8b4, v75
	v_fmac_f16_e32 v39, 0x38b4, v75
	;; [unrolled: 1-line block ×12, first 2 shown]
	v_add_f16_e32 v29, v4, v1
	v_sub_f16_e32 v1, v4, v1
	v_add_f16_e32 v4, v8, v6
	v_sub_f16_e32 v6, v8, v6
	;; [unrolled: 2-line block ×3, first 2 shown]
	v_fmamk_f16 v66, v89, 0xbb9c, v76
	v_fmac_f16_e32 v76, 0x3b9c, v89
	v_fmac_f16_e32 v93, 0xb8b4, v64
	;; [unrolled: 1-line block ×3, first 2 shown]
	v_add_f16_e32 v5, v36, v41
	v_sub_f16_e32 v28, v36, v41
	v_fmac_f16_e32 v72, 0xbb9c, v88
	v_fmamk_f16 v103, v83, 0xbb9c, v77
	v_fmac_f16_e32 v77, 0x3b9c, v83
	v_fmac_f16_e32 v61, 0x38b4, v89
	;; [unrolled: 1-line block ×13, first 2 shown]
	v_mul_f16_e32 v3, 0xbb9c, v62
	v_pack_b32_f16 v4, v4, v8
	v_pack_b32_f16 v2, v6, v2
	v_mul_f16_e32 v6, 0xb8b4, v95
	v_mul_f16_e32 v8, 0x3a79, v95
	;; [unrolled: 1-line block ×3, first 2 shown]
	v_fmac_f16_e32 v66, 0x38b4, v88
	v_fmac_f16_e32 v76, 0xb8b4, v88
	;; [unrolled: 1-line block ×3, first 2 shown]
	v_pack_b32_f16 v5, v5, v29
	v_pack_b32_f16 v1, v28, v1
	v_mul_f16_e32 v28, 0xbb9c, v96
	v_mul_f16_e32 v29, 0x34f2, v96
	;; [unrolled: 1-line block ×3, first 2 shown]
	v_fmac_f16_e32 v72, 0xb8b4, v89
	v_mul_f16_e32 v36, 0xba79, v48
	v_fmac_f16_e32 v98, 0xb8b4, v71
	v_fmac_f16_e32 v90, 0x38b4, v71
	;; [unrolled: 1-line block ×13, first 2 shown]
	v_mul_f16_e32 v37, 0xb8b4, v65
	v_mul_f16_e32 v40, 0x3a79, v65
	;; [unrolled: 1-line block ×8, first 2 shown]
	v_fmac_f16_e32 v3, 0xb4f2, v78
	v_fmac_f16_e32 v6, 0x3a79, v82
	;; [unrolled: 1-line block ×25, first 2 shown]
	v_add_f16_e32 v39, v45, v3
	v_sub_f16_e32 v3, v45, v3
	v_add_f16_e32 v45, v7, v6
	v_add_f16_e32 v52, v32, v35
	v_sub_f16_e32 v32, v32, v35
	v_add_f16_e32 v35, v61, v8
	v_sub_f16_e32 v6, v7, v6
	v_add_f16_e32 v7, v60, v28
	v_add_f16_e32 v53, v66, v29
	;; [unrolled: 1-line block ×4, first 2 shown]
	v_sub_f16_e32 v28, v60, v28
	v_sub_f16_e32 v8, v61, v8
	v_sub_f16_e32 v29, v66, v29
	v_sub_f16_e32 v31, v76, v31
	v_sub_f16_e32 v36, v72, v36
	v_add_f16_e32 v59, v98, v37
	v_sub_f16_e32 v37, v98, v37
	v_add_f16_e32 v60, v99, v41
	v_sub_f16_e32 v41, v99, v41
	;; [unrolled: 2-line block ×8, first 2 shown]
	v_pack_b32_f16 v35, v45, v35
	v_pack_b32_f16 v7, v7, v53
	;; [unrolled: 1-line block ×16, first 2 shown]
	ds_write2st64_b32 v51, v5, v35 offset1:1
	ds_write2st64_b32 v51, v7, v39 offset0:2 offset1:3
	ds_write2st64_b32 v51, v45, v1 offset0:4 offset1:5
	;; [unrolled: 1-line block ×4, first 2 shown]
	ds_write2st64_b32 v27, v4, v29 offset1:1
	ds_write2st64_b32 v27, v31, v32 offset0:2 offset1:3
	ds_write2st64_b32 v27, v36, v2 offset0:4 offset1:5
	;; [unrolled: 1-line block ×4, first 2 shown]
	v_add_co_u32 v7, s0, 0x800, v54
	v_add_co_ci_u32_e64 v8, s0, 0, v55, s0
	v_add_co_u32 v16, s0, s8, v16
	v_add_co_ci_u32_e64 v17, s0, s9, v17, s0
	s_waitcnt lgkmcnt(0)
	s_barrier
	buffer_gl0_inv
	s_clause 0x1
	global_load_dwordx3 v[1:3], v[33:34], off offset:496
	global_load_dwordx3 v[27:29], v[7:8], off offset:496
	v_add_co_u32 v7, s0, 0x800, v16
	v_add_co_ci_u32_e64 v8, s0, 0, v17, s0
	v_add_co_u32 v16, s0, 0x800, v49
	v_add_co_ci_u32_e64 v17, s0, 0, v50, s0
	s_clause 0x2
	global_load_dwordx3 v[4:6], v[43:44], off offset:496
	global_load_dwordx3 v[30:32], v[7:8], off offset:496
	;; [unrolled: 1-line block ×3, first 2 shown]
	ds_read2st64_b32 v[7:8], v19 offset0:20 offset1:22
	ds_read2st64_b32 v[16:17], v19 offset0:32 offset1:34
	;; [unrolled: 1-line block ×7, first 2 shown]
	ds_read2st64_b32 v[46:47], v19 offset1:10
	ds_read_b32 v48, v26
	ds_read_b32 v49, v25
	;; [unrolled: 1-line block ×4, first 2 shown]
	s_waitcnt vmcnt(0) lgkmcnt(0)
	s_barrier
	buffer_gl0_inv
	v_cmp_ne_u32_e64 s0, 0, v0
	v_lshrrev_b32_e32 v52, 16, v8
	v_lshrrev_b32_e32 v64, 16, v7
	v_lshrrev_b32_e32 v54, 16, v37
	v_lshrrev_b32_e32 v55, 16, v36
	v_lshrrev_b32_e32 v56, 16, v38
	v_lshrrev_b32_e32 v58, 16, v40
	v_lshrrev_b32_e32 v59, 16, v39
	v_lshrrev_b32_e32 v65, 16, v45
	v_lshrrev_b32_e32 v66, 16, v47
	v_lshrrev_b32_e32 v53, 16, v16
	v_lshrrev_b32_e32 v57, 16, v17
	v_lshrrev_b32_e32 v60, 16, v42
	v_lshrrev_b32_e32 v61, 16, v41
	v_lshrrev_b32_e32 v62, 16, v44
	v_lshrrev_b32_e32 v63, 16, v43
	v_lshrrev_b32_e32 v67, 16, v46
	v_lshrrev_b32_e32 v68, 16, v48
	v_lshrrev_b32_e32 v69, 16, v49
	v_lshrrev_b32_e32 v70, 16, v50
	v_lshrrev_b32_e32 v71, 16, v51
	v_mul_f16_sdwa v72, v1, v36 dst_sel:DWORD dst_unused:UNUSED_PAD src0_sel:WORD_1 src1_sel:DWORD
	v_mul_f16_sdwa v73, v8, v2 dst_sel:DWORD dst_unused:UNUSED_PAD src0_sel:DWORD src1_sel:WORD_1
	v_mul_f16_sdwa v74, v1, v55 dst_sel:DWORD dst_unused:UNUSED_PAD src0_sel:WORD_1 src1_sel:DWORD
	v_mul_f16_sdwa v76, v52, v2 dst_sel:DWORD dst_unused:UNUSED_PAD src0_sel:DWORD src1_sel:WORD_1
	v_mul_f16_sdwa v84, v59, v28 dst_sel:DWORD dst_unused:UNUSED_PAD src0_sel:DWORD src1_sel:WORD_1
	;; [unrolled: 1-line block ×11, first 2 shown]
	v_mul_f16_sdwa v95, v34, v64 dst_sel:DWORD dst_unused:UNUSED_PAD src0_sel:WORD_1 src1_sel:DWORD
	v_mul_f16_sdwa v97, v35, v65 dst_sel:DWORD dst_unused:UNUSED_PAD src0_sel:WORD_1 src1_sel:DWORD
	;; [unrolled: 1-line block ×6, first 2 shown]
	v_mul_f16_sdwa v79, v57, v6 dst_sel:DWORD dst_unused:UNUSED_PAD src0_sel:DWORD src1_sel:WORD_1
	v_mul_f16_sdwa v82, v17, v6 dst_sel:DWORD dst_unused:UNUSED_PAD src0_sel:DWORD src1_sel:WORD_1
	v_mul_f16_sdwa v88, v42, v29 dst_sel:DWORD dst_unused:UNUSED_PAD src0_sel:DWORD src1_sel:WORD_1
	v_mul_f16_sdwa v89, v60, v29 dst_sel:DWORD dst_unused:UNUSED_PAD src0_sel:DWORD src1_sel:WORD_1
	v_mul_f16_sdwa v90, v61, v30 dst_sel:DWORD dst_unused:UNUSED_PAD src0_sel:DWORD src1_sel:WORD_1
	v_mul_f16_sdwa v91, v63, v32 dst_sel:DWORD dst_unused:UNUSED_PAD src0_sel:DWORD src1_sel:WORD_1
	v_mul_f16_sdwa v92, v41, v30 dst_sel:DWORD dst_unused:UNUSED_PAD src0_sel:DWORD src1_sel:WORD_1
	v_mul_f16_sdwa v93, v44, v31 dst_sel:DWORD dst_unused:UNUSED_PAD src0_sel:DWORD src1_sel:WORD_1
	v_mul_f16_sdwa v94, v43, v32 dst_sel:DWORD dst_unused:UNUSED_PAD src0_sel:DWORD src1_sel:WORD_1
	v_mul_f16_sdwa v96, v62, v31 dst_sel:DWORD dst_unused:UNUSED_PAD src0_sel:DWORD src1_sel:WORD_1
	v_fma_f16 v55, v1, v55, -v72
	v_fma_f16 v52, v52, v2, -v73
	v_fmac_f16_e32 v74, v1, v36
	v_fmac_f16_e32 v76, v8, v2
	;; [unrolled: 1-line block ×3, first 2 shown]
	v_fma_f16 v1, v54, v4, -v80
	v_fma_f16 v2, v56, v5, -v81
	v_fmac_f16_e32 v83, v38, v5
	v_fmac_f16_e32 v84, v39, v28
	v_fma_f16 v4, v58, v27, -v85
	v_fma_f16 v5, v59, v28, -v86
	v_fmac_f16_e32 v87, v40, v27
	v_fmac_f16_e32 v95, v34, v7
	;; [unrolled: 1-line block ×3, first 2 shown]
	v_fma_f16 v7, v33, v66, -v100
	v_fma_f16 v27, v34, v64, -v98
	v_fmac_f16_e32 v101, v33, v47
	v_fma_f16 v28, v35, v65, -v99
	v_fma_f16 v53, v53, v3, -v75
	v_fmac_f16_e32 v77, v16, v3
	v_fmac_f16_e32 v79, v17, v6
	v_fma_f16 v3, v57, v6, -v82
	v_fma_f16 v6, v60, v29, -v88
	v_fmac_f16_e32 v89, v42, v29
	v_fmac_f16_e32 v90, v41, v30
	;; [unrolled: 1-line block ×3, first 2 shown]
	v_fma_f16 v8, v61, v30, -v92
	v_fma_f16 v16, v62, v31, -v93
	;; [unrolled: 1-line block ×3, first 2 shown]
	v_fmac_f16_e32 v96, v44, v31
	v_sub_f16_e32 v29, v46, v95
	v_sub_f16_e32 v27, v67, v27
	;; [unrolled: 1-line block ×20, first 2 shown]
	v_fma_f16 v41, v46, 2.0, -v29
	v_fma_f16 v42, v67, 2.0, -v27
	;; [unrolled: 1-line block ×12, first 2 shown]
	v_add_f16_e32 v28, v29, v28
	v_sub_f16_e32 v30, v27, v30
	v_add_f16_e32 v34, v31, v34
	v_sub_f16_e32 v33, v32, v33
	v_fma_f16 v50, v50, 2.0, -v37
	v_fma_f16 v53, v70, 2.0, -v5
	;; [unrolled: 1-line block ×8, first 2 shown]
	v_sub_f16_e32 v43, v41, v43
	v_sub_f16_e32 v7, v42, v7
	v_add_f16_e32 v3, v35, v3
	v_sub_f16_e32 v36, v2, v36
	v_add_f16_e32 v6, v37, v6
	v_sub_f16_e32 v38, v5, v38
	v_sub_f16_e32 v46, v44, v46
	;; [unrolled: 1-line block ×3, first 2 shown]
	v_add_f16_e32 v17, v39, v17
	v_sub_f16_e32 v40, v16, v40
	v_sub_f16_e32 v52, v48, v52
	;; [unrolled: 1-line block ×3, first 2 shown]
	v_fma_f16 v29, v29, 2.0, -v28
	v_fma_f16 v27, v27, 2.0, -v30
	;; [unrolled: 1-line block ×4, first 2 shown]
	v_sub_f16_e32 v54, v50, v54
	v_sub_f16_e32 v4, v53, v4
	;; [unrolled: 1-line block ×4, first 2 shown]
	v_pack_b32_f16 v28, v28, v30
	v_pack_b32_f16 v30, v34, v33
	v_fma_f16 v33, v41, 2.0, -v43
	v_fma_f16 v34, v42, 2.0, -v7
	;; [unrolled: 1-line block ×6, first 2 shown]
	v_pack_b32_f16 v3, v3, v36
	v_pack_b32_f16 v6, v6, v38
	v_fma_f16 v36, v44, 2.0, -v46
	v_fma_f16 v38, v45, 2.0, -v47
	v_pack_b32_f16 v7, v43, v7
	v_fma_f16 v39, v39, 2.0, -v17
	v_fma_f16 v16, v16, 2.0, -v40
	;; [unrolled: 3-line block ×3, first 2 shown]
	v_fma_f16 v42, v50, 2.0, -v54
	v_fma_f16 v44, v53, 2.0, -v4
	;; [unrolled: 1-line block ×4, first 2 shown]
	v_pack_b32_f16 v27, v29, v27
	v_pack_b32_f16 v29, v31, v32
	v_pack_b32_f16 v32, v33, v34
	ds_write2st64_b32 v19, v7, v28 offset0:20 offset1:30
	v_pack_b32_f16 v7, v36, v38
	v_pack_b32_f16 v31, v46, v47
	v_pack_b32_f16 v2, v35, v2
	v_pack_b32_f16 v28, v40, v41
	v_pack_b32_f16 v1, v52, v1
	v_pack_b32_f16 v5, v37, v5
	v_pack_b32_f16 v4, v54, v4
	v_pack_b32_f16 v16, v39, v16
	v_pack_b32_f16 v8, v56, v8
	v_pack_b32_f16 v33, v42, v44
	v_pack_b32_f16 v34, v45, v48
	ds_write2st64_b32 v19, v32, v27 offset1:10
	ds_write2st64_b32 v26, v7, v29 offset1:10
	ds_write2st64_b32 v26, v31, v30 offset0:20 offset1:30
	ds_write2st64_b32 v25, v28, v2 offset1:10
	ds_write2st64_b32 v25, v1, v3 offset0:20 offset1:30
	;; [unrolled: 2-line block ×4, first 2 shown]
	s_waitcnt lgkmcnt(0)
	s_barrier
	buffer_gl0_inv
	ds_read_b32 v2, v19
	v_sub_nc_u32_e32 v1, 0, v18
                                        ; implicit-def: $vgpr8
                                        ; implicit-def: $vgpr3
                                        ; implicit-def: $vgpr7
	s_and_saveexec_b32 s1, s0
	s_xor_b32 s0, exec_lo, s1
	s_cbranch_execz .LBB0_15
; %bb.14:
	global_load_dword v3, v18, s[4:5]
	ds_read_b32 v4, v1 offset:10240
	s_waitcnt lgkmcnt(0)
	v_pk_add_f16 v5, v2, v4 neg_lo:[0,1] neg_hi:[0,1]
	v_pk_add_f16 v2, v4, v2
	v_bfi_b32 v4, 0xffff, v5, v2
	v_bfi_b32 v2, 0xffff, v2, v5
	v_pk_mul_f16 v4, v4, 0.5 op_sel_hi:[1,0]
	v_pk_mul_f16 v6, v2, 0.5 op_sel_hi:[1,0]
	s_waitcnt vmcnt(0)
	v_pk_mul_f16 v5, v3, v4 op_sel:[1,0]
	v_pk_mul_f16 v4, v3, v4 op_sel_hi:[0,1]
	v_pk_fma_f16 v2, v2, 0.5, v5 op_sel_hi:[1,0,1]
	v_sub_f16_e32 v3, v6, v5
	v_sub_f16_sdwa v5, v5, v6 dst_sel:DWORD dst_unused:UNUSED_PAD src0_sel:WORD_1 src1_sel:WORD_1
	v_pk_add_f16 v7, v2, v4 op_sel:[0,1] op_sel_hi:[1,0]
	v_pk_add_f16 v2, v2, v4 op_sel:[0,1] op_sel_hi:[1,0] neg_lo:[0,1] neg_hi:[0,1]
	v_sub_f16_sdwa v3, v3, v4 dst_sel:DWORD dst_unused:UNUSED_PAD src0_sel:DWORD src1_sel:WORD_1
	v_bfi_b32 v8, 0xffff, v7, v2
	v_sub_f16_e32 v7, v5, v4
                                        ; implicit-def: $vgpr2
.LBB0_15:
	s_or_saveexec_b32 s0, s0
	v_mul_i32_i24_e32 v17, -12, v11
	v_mul_i32_i24_e32 v5, -12, v15
	;; [unrolled: 1-line block ×4, first 2 shown]
	s_xor_b32 exec_lo, exec_lo, s0
	s_cbranch_execz .LBB0_17
; %bb.16:
	v_mov_b32_e32 v7, 0
	s_waitcnt lgkmcnt(0)
	v_alignbit_b32 v3, s0, v2, 16
	ds_read_u16 v8, v7 offset:5122
	v_pk_add_f16 v12, v3, v2
	v_sub_f16_sdwa v3, v2, v2 dst_sel:DWORD dst_unused:UNUSED_PAD src0_sel:DWORD src1_sel:WORD_1
	s_waitcnt lgkmcnt(0)
	v_xor_b32_e32 v2, 0x8000, v8
	v_pack_b32_f16 v8, v12, 0
	ds_write_b16 v7, v2 offset:5122
.LBB0_17:
	s_or_b32 exec_lo, exec_lo, s0
	v_mov_b32_e32 v12, 0
	s_waitcnt lgkmcnt(0)
	v_or_b32_e32 v2, 0x280, v0
	ds_write_b16 v1, v7 offset:10242
	v_add_nc_u32_e32 v7, v23, v17
	v_add_nc_u32_e32 v20, v20, v4
	v_lshlrev_b64 v[24:25], 2, v[11:12]
	v_mov_b32_e32 v16, v12
	v_lshlrev_b32_e32 v2, 2, v2
	v_or_b32_e32 v4, 0x480, v0
	v_lshlrev_b64 v[15:16], 2, v[15:16]
	v_add_co_u32 v24, s0, s4, v24
	v_add_co_ci_u32_e64 v25, s0, s5, v25, s0
	v_lshlrev_b32_e32 v4, 2, v4
	v_add_co_u32 v15, s0, s4, v15
	global_load_dword v24, v[24:25], off
	v_add_co_ci_u32_e64 v16, s0, s5, v16, s0
	global_load_dword v16, v[15:16], off
	v_mov_b32_e32 v15, v12
	v_lshlrev_b64 v[14:15], 2, v[14:15]
	v_add_co_u32 v14, s0, s4, v14
	v_add_co_ci_u32_e64 v15, s0, s5, v15, s0
	global_load_dword v15, v[14:15], off
	v_mov_b32_e32 v14, v12
	v_lshlrev_b64 v[11:12], 2, v[13:14]
	v_add_co_u32 v11, s0, s4, v11
	v_add_co_ci_u32_e64 v12, s0, s5, v12, s0
	s_clause 0x1
	global_load_dword v11, v[11:12], off
	global_load_dword v12, v2, s[4:5]
	ds_write_b32 v19, v8
	ds_write_b16 v1, v3 offset:10240
	v_or_b32_e32 v3, 0x300, v0
	ds_read_b32 v8, v1 offset:9728
	ds_read_b32 v13, v7
	v_lshlrev_b32_e32 v3, 2, v3
	global_load_dword v14, v3, s[4:5]
	s_waitcnt lgkmcnt(0)
	v_pk_add_f16 v17, v13, v8 neg_lo:[0,1] neg_hi:[0,1]
	v_pk_add_f16 v8, v13, v8
	v_bfi_b32 v13, 0xffff, v17, v8
	v_bfi_b32 v8, 0xffff, v8, v17
	v_pk_mul_f16 v13, v13, 0.5 op_sel_hi:[1,0]
	v_pk_mul_f16 v8, v8, 0.5 op_sel_hi:[1,0]
	s_waitcnt vmcnt(5)
	v_pk_fma_f16 v17, v24, v13, v8 op_sel:[1,0,0]
	v_pk_mul_f16 v23, v24, v13 op_sel_hi:[0,1]
	v_pk_fma_f16 v25, v24, v13, v8 op_sel:[1,0,0] neg_lo:[1,0,0] neg_hi:[1,0,0]
	v_pk_fma_f16 v8, v24, v13, v8 op_sel:[1,0,0] neg_lo:[0,0,1] neg_hi:[0,0,1]
	v_pk_add_f16 v13, v17, v23 op_sel:[0,1] op_sel_hi:[1,0]
	v_pk_add_f16 v17, v17, v23 op_sel:[0,1] op_sel_hi:[1,0] neg_lo:[0,1] neg_hi:[0,1]
	v_pk_add_f16 v24, v25, v23 op_sel:[0,1] op_sel_hi:[1,0] neg_lo:[0,1] neg_hi:[0,1]
	;; [unrolled: 1-line block ×3, first 2 shown]
	v_bfi_b32 v13, 0xffff, v13, v17
	v_add_nc_u32_e32 v17, v22, v5
	v_or_b32_e32 v5, 0x380, v0
	v_bfi_b32 v8, 0xffff, v24, v8
	ds_write_b32 v7, v13
	ds_write_b32 v1, v8 offset:9728
	v_lshlrev_b32_e32 v5, 2, v5
	ds_read_b32 v7, v17
	ds_read_b32 v8, v1 offset:9216
	global_load_dword v13, v5, s[4:5]
	s_waitcnt lgkmcnt(0)
	v_pk_add_f16 v22, v7, v8 neg_lo:[0,1] neg_hi:[0,1]
	v_pk_add_f16 v7, v7, v8
	v_bfi_b32 v8, 0xffff, v22, v7
	v_bfi_b32 v7, 0xffff, v7, v22
	v_pk_mul_f16 v8, v8, 0.5 op_sel_hi:[1,0]
	v_pk_mul_f16 v7, v7, 0.5 op_sel_hi:[1,0]
	s_waitcnt vmcnt(5)
	v_pk_mul_f16 v23, v16, v8 op_sel_hi:[0,1]
	v_pk_fma_f16 v22, v16, v8, v7 op_sel:[1,0,0]
	v_pk_fma_f16 v24, v16, v8, v7 op_sel:[1,0,0] neg_lo:[1,0,0] neg_hi:[1,0,0]
	v_pk_fma_f16 v7, v16, v8, v7 op_sel:[1,0,0] neg_lo:[0,0,1] neg_hi:[0,0,1]
	v_pk_add_f16 v8, v22, v23 op_sel:[0,1] op_sel_hi:[1,0]
	v_pk_add_f16 v16, v22, v23 op_sel:[0,1] op_sel_hi:[1,0] neg_lo:[0,1] neg_hi:[0,1]
	v_pk_add_f16 v22, v24, v23 op_sel:[0,1] op_sel_hi:[1,0] neg_lo:[0,1] neg_hi:[0,1]
	;; [unrolled: 1-line block ×3, first 2 shown]
	v_bfi_b32 v8, 0xffff, v8, v16
	v_add_nc_u32_e32 v16, v21, v6
	v_or_b32_e32 v6, 0x400, v0
	v_bfi_b32 v7, 0xffff, v22, v7
	ds_write_b32 v17, v8
	ds_write_b32 v1, v7 offset:9216
	v_lshlrev_b32_e32 v6, 2, v6
	ds_read_b32 v7, v16
	ds_read_b32 v8, v1 offset:8704
	global_load_dword v17, v6, s[4:5]
	s_waitcnt lgkmcnt(0)
	v_pk_add_f16 v21, v7, v8 neg_lo:[0,1] neg_hi:[0,1]
	v_pk_add_f16 v7, v7, v8
	v_bfi_b32 v8, 0xffff, v21, v7
	v_bfi_b32 v7, 0xffff, v7, v21
	v_pk_mul_f16 v8, v8, 0.5 op_sel_hi:[1,0]
	v_pk_mul_f16 v22, v7, 0.5 op_sel_hi:[1,0]
	s_waitcnt vmcnt(5)
	v_pk_mul_f16 v21, v15, v8 op_sel:[1,0]
	v_pk_mul_f16 v8, v15, v8 op_sel_hi:[0,1]
	v_pk_fma_f16 v7, v7, 0.5, v21 op_sel_hi:[1,0,1]
	v_sub_f16_sdwa v15, v21, v22 dst_sel:DWORD dst_unused:UNUSED_PAD src0_sel:WORD_1 src1_sel:WORD_1
	v_sub_f16_e32 v21, v22, v21
	v_pk_add_f16 v23, v7, v8 op_sel:[0,1] op_sel_hi:[1,0]
	v_pk_add_f16 v7, v7, v8 op_sel:[0,1] op_sel_hi:[1,0] neg_lo:[0,1] neg_hi:[0,1]
	v_sub_f16_e32 v15, v15, v8
	v_sub_f16_sdwa v8, v21, v8 dst_sel:DWORD dst_unused:UNUSED_PAD src0_sel:DWORD src1_sel:WORD_1
	v_bfi_b32 v7, 0xffff, v23, v7
	ds_write_b16 v1, v15 offset:8706
	ds_write_b32 v16, v7
	ds_write_b16 v1, v8 offset:8704
	ds_read_b32 v7, v20
	ds_read_b32 v8, v1 offset:8192
	global_load_dword v15, v4, s[4:5]
	s_waitcnt lgkmcnt(0)
	v_pk_add_f16 v16, v7, v8 neg_lo:[0,1] neg_hi:[0,1]
	v_pk_add_f16 v7, v7, v8
	v_bfi_b32 v8, 0xffff, v16, v7
	v_bfi_b32 v7, 0xffff, v7, v16
	v_pk_mul_f16 v8, v8, 0.5 op_sel_hi:[1,0]
	v_pk_mul_f16 v7, v7, 0.5 op_sel_hi:[1,0]
	s_waitcnt vmcnt(5)
	v_pk_mul_f16 v21, v11, v8 op_sel_hi:[0,1]
	v_pk_fma_f16 v16, v11, v8, v7 op_sel:[1,0,0]
	v_pk_fma_f16 v22, v11, v8, v7 op_sel:[1,0,0] neg_lo:[1,0,0] neg_hi:[1,0,0]
	v_pk_fma_f16 v7, v11, v8, v7 op_sel:[1,0,0] neg_lo:[0,0,1] neg_hi:[0,0,1]
	v_pk_add_f16 v8, v16, v21 op_sel:[0,1] op_sel_hi:[1,0]
	v_pk_add_f16 v11, v16, v21 op_sel:[0,1] op_sel_hi:[1,0] neg_lo:[0,1] neg_hi:[0,1]
	v_pk_add_f16 v16, v22, v21 op_sel:[0,1] op_sel_hi:[1,0] neg_lo:[0,1] neg_hi:[0,1]
	;; [unrolled: 1-line block ×3, first 2 shown]
	v_bfi_b32 v8, 0xffff, v8, v11
	v_bfi_b32 v7, 0xffff, v16, v7
	ds_write_b32 v20, v8
	ds_write_b32 v1, v7 offset:8192
	ds_read_b32 v7, v19 offset:2560
	ds_read_b32 v8, v1 offset:7680
	s_waitcnt lgkmcnt(0)
	v_pk_add_f16 v11, v7, v8 neg_lo:[0,1] neg_hi:[0,1]
	v_pk_add_f16 v7, v7, v8
	v_bfi_b32 v8, 0xffff, v11, v7
	v_bfi_b32 v7, 0xffff, v7, v11
	v_pk_mul_f16 v8, v8, 0.5 op_sel_hi:[1,0]
	v_pk_mul_f16 v16, v7, 0.5 op_sel_hi:[1,0]
	s_waitcnt vmcnt(4)
	v_pk_mul_f16 v11, v12, v8 op_sel:[1,0]
	v_pk_mul_f16 v8, v12, v8 op_sel_hi:[0,1]
	v_pk_fma_f16 v7, v7, 0.5, v11 op_sel_hi:[1,0,1]
	v_sub_f16_sdwa v12, v11, v16 dst_sel:DWORD dst_unused:UNUSED_PAD src0_sel:WORD_1 src1_sel:WORD_1
	v_sub_f16_e32 v11, v16, v11
	v_pk_add_f16 v20, v7, v8 op_sel:[0,1] op_sel_hi:[1,0]
	v_pk_add_f16 v7, v7, v8 op_sel:[0,1] op_sel_hi:[1,0] neg_lo:[0,1] neg_hi:[0,1]
	v_sub_f16_e32 v12, v12, v8
	v_sub_f16_sdwa v8, v11, v8 dst_sel:DWORD dst_unused:UNUSED_PAD src0_sel:DWORD src1_sel:WORD_1
	v_bfi_b32 v7, 0xffff, v20, v7
	ds_write_b16 v1, v12 offset:7682
	ds_write_b32 v19, v7 offset:2560
	ds_write_b16 v1, v8 offset:7680
	ds_read_b32 v7, v19 offset:3072
	ds_read_b32 v8, v1 offset:7168
	s_waitcnt lgkmcnt(0)
	v_pk_add_f16 v11, v7, v8 neg_lo:[0,1] neg_hi:[0,1]
	v_pk_add_f16 v7, v7, v8
	v_bfi_b32 v8, 0xffff, v11, v7
	v_bfi_b32 v7, 0xffff, v7, v11
	v_pk_mul_f16 v8, v8, 0.5 op_sel_hi:[1,0]
	v_pk_mul_f16 v12, v7, 0.5 op_sel_hi:[1,0]
	s_waitcnt vmcnt(3)
	v_pk_mul_f16 v11, v14, v8 op_sel:[1,0]
	v_pk_mul_f16 v8, v14, v8 op_sel_hi:[0,1]
	v_pk_fma_f16 v7, v7, 0.5, v11 op_sel_hi:[1,0,1]
	v_sub_f16_sdwa v14, v11, v12 dst_sel:DWORD dst_unused:UNUSED_PAD src0_sel:WORD_1 src1_sel:WORD_1
	v_sub_f16_e32 v11, v12, v11
	v_pk_add_f16 v16, v7, v8 op_sel:[0,1] op_sel_hi:[1,0]
	v_pk_add_f16 v7, v7, v8 op_sel:[0,1] op_sel_hi:[1,0] neg_lo:[0,1] neg_hi:[0,1]
	v_sub_f16_e32 v12, v14, v8
	v_sub_f16_sdwa v11, v11, v8 dst_sel:DWORD dst_unused:UNUSED_PAD src0_sel:DWORD src1_sel:WORD_1
	v_add_nc_u32_e32 v8, 0, v5
	v_bfi_b32 v7, 0xffff, v16, v7
	ds_write_b16 v1, v12 offset:7170
	ds_write_b32 v19, v7 offset:3072
	ds_write_b16 v1, v11 offset:7168
	ds_read_b32 v7, v8
	ds_read_b32 v11, v1 offset:6656
	s_waitcnt lgkmcnt(0)
	v_pk_add_f16 v12, v7, v11 neg_lo:[0,1] neg_hi:[0,1]
	v_pk_add_f16 v7, v7, v11
	v_bfi_b32 v11, 0xffff, v12, v7
	v_bfi_b32 v7, 0xffff, v7, v12
	v_pk_mul_f16 v11, v11, 0.5 op_sel_hi:[1,0]
	v_pk_mul_f16 v14, v7, 0.5 op_sel_hi:[1,0]
	s_waitcnt vmcnt(2)
	v_pk_mul_f16 v12, v13, v11 op_sel:[1,0]
	v_pk_mul_f16 v11, v13, v11 op_sel_hi:[0,1]
	v_pk_fma_f16 v7, v7, 0.5, v12 op_sel_hi:[1,0,1]
	v_sub_f16_sdwa v13, v12, v14 dst_sel:DWORD dst_unused:UNUSED_PAD src0_sel:WORD_1 src1_sel:WORD_1
	v_sub_f16_e32 v12, v14, v12
	v_pk_add_f16 v16, v7, v11 op_sel:[0,1] op_sel_hi:[1,0]
	v_pk_add_f16 v7, v7, v11 op_sel:[0,1] op_sel_hi:[1,0] neg_lo:[0,1] neg_hi:[0,1]
	v_sub_f16_e32 v13, v13, v11
	v_sub_f16_sdwa v11, v12, v11 dst_sel:DWORD dst_unused:UNUSED_PAD src0_sel:DWORD src1_sel:WORD_1
	v_bfi_b32 v7, 0xffff, v16, v7
	ds_write_b16 v1, v13 offset:6658
	ds_write_b32 v8, v7
	ds_write_b16 v1, v11 offset:6656
	ds_read_b32 v7, v19 offset:4096
	ds_read_b32 v11, v1 offset:6144
	s_waitcnt lgkmcnt(0)
	v_pk_add_f16 v12, v7, v11 neg_lo:[0,1] neg_hi:[0,1]
	v_pk_add_f16 v7, v7, v11
	v_bfi_b32 v11, 0xffff, v12, v7
	v_bfi_b32 v7, 0xffff, v7, v12
	v_pk_mul_f16 v11, v11, 0.5 op_sel_hi:[1,0]
	v_pk_mul_f16 v7, v7, 0.5 op_sel_hi:[1,0]
	s_waitcnt vmcnt(1)
	v_pk_mul_f16 v13, v17, v11 op_sel_hi:[0,1]
	v_pk_fma_f16 v12, v17, v11, v7 op_sel:[1,0,0]
	v_pk_fma_f16 v14, v17, v11, v7 op_sel:[1,0,0] neg_lo:[1,0,0] neg_hi:[1,0,0]
	v_pk_fma_f16 v7, v17, v11, v7 op_sel:[1,0,0] neg_lo:[0,0,1] neg_hi:[0,0,1]
	v_pk_add_f16 v11, v12, v13 op_sel:[0,1] op_sel_hi:[1,0]
	v_pk_add_f16 v12, v12, v13 op_sel:[0,1] op_sel_hi:[1,0] neg_lo:[0,1] neg_hi:[0,1]
	v_pk_add_f16 v14, v14, v13 op_sel:[0,1] op_sel_hi:[1,0] neg_lo:[0,1] neg_hi:[0,1]
	;; [unrolled: 1-line block ×3, first 2 shown]
	v_bfi_b32 v11, 0xffff, v11, v12
	v_bfi_b32 v7, 0xffff, v14, v7
	ds_write_b32 v19, v11 offset:4096
	ds_write_b32 v1, v7 offset:6144
	ds_read_b32 v7, v19 offset:4608
	ds_read_b32 v11, v1 offset:5632
	s_waitcnt lgkmcnt(0)
	v_pk_add_f16 v12, v7, v11 neg_lo:[0,1] neg_hi:[0,1]
	v_pk_add_f16 v7, v7, v11
	v_bfi_b32 v11, 0xffff, v12, v7
	v_bfi_b32 v7, 0xffff, v7, v12
	v_pk_mul_f16 v11, v11, 0.5 op_sel_hi:[1,0]
	v_pk_mul_f16 v13, v7, 0.5 op_sel_hi:[1,0]
	s_waitcnt vmcnt(0)
	v_pk_mul_f16 v12, v15, v11 op_sel:[1,0]
	v_pk_mul_f16 v11, v15, v11 op_sel_hi:[0,1]
	v_pk_fma_f16 v7, v7, 0.5, v12 op_sel_hi:[1,0,1]
	v_sub_f16_sdwa v14, v12, v13 dst_sel:DWORD dst_unused:UNUSED_PAD src0_sel:WORD_1 src1_sel:WORD_1
	v_sub_f16_e32 v12, v13, v12
	v_pk_add_f16 v15, v7, v11 op_sel:[0,1] op_sel_hi:[1,0]
	v_pk_add_f16 v7, v7, v11 op_sel:[0,1] op_sel_hi:[1,0] neg_lo:[0,1] neg_hi:[0,1]
	v_sub_f16_e32 v13, v14, v11
	v_sub_f16_sdwa v11, v12, v11 dst_sel:DWORD dst_unused:UNUSED_PAD src0_sel:DWORD src1_sel:WORD_1
	v_bfi_b32 v7, 0xffff, v15, v7
	ds_write_b16 v1, v13 offset:5634
	ds_write_b32 v19, v7 offset:4608
	ds_write_b16 v1, v11 offset:5632
	s_waitcnt lgkmcnt(0)
	s_barrier
	buffer_gl0_inv
	s_and_saveexec_b32 s0, vcc_lo
	s_cbranch_execz .LBB0_20
; %bb.18:
	ds_read2st64_b32 v[11:12], v19 offset1:2
	v_add_co_u32 v1, vcc_lo, s2, v9
	v_add_co_ci_u32_e32 v7, vcc_lo, s3, v10, vcc_lo
	ds_read2st64_b32 v[9:10], v19 offset0:4 offset1:6
	ds_read2st64_b32 v[13:14], v19 offset0:8 offset1:10
	;; [unrolled: 1-line block ×3, first 2 shown]
	v_or_b32_e32 v17, 0x800, v18
	v_add_co_u32 v20, vcc_lo, v1, v18
	v_add_co_ci_u32_e32 v21, vcc_lo, 0, v7, vcc_lo
	v_add_co_u32 v22, vcc_lo, v1, v17
	v_add_co_ci_u32_e32 v23, vcc_lo, 0, v7, vcc_lo
	v_lshl_or_b32 v17, v0, 2, 0x1e00
	s_waitcnt lgkmcnt(3)
	global_store_dword v[20:21], v11, off
	global_store_dword v[20:21], v12, off offset:512
	v_add_co_u32 v11, vcc_lo, v1, v2
	v_add_co_ci_u32_e32 v12, vcc_lo, 0, v7, vcc_lo
	v_add_co_u32 v2, vcc_lo, v1, v3
	v_add_co_ci_u32_e32 v3, vcc_lo, 0, v7, vcc_lo
	s_waitcnt lgkmcnt(2)
	global_store_dword v[20:21], v9, off offset:1024
	global_store_dword v[20:21], v10, off offset:1536
	s_waitcnt lgkmcnt(1)
	global_store_dword v[22:23], v13, off
	global_store_dword v[11:12], v14, off
	s_waitcnt lgkmcnt(0)
	global_store_dword v[2:3], v15, off
	ds_read_b32 v14, v8
	ds_read2st64_b32 v[2:3], v19 offset0:18 offset1:20
	v_add_co_u32 v8, vcc_lo, v1, v5
	v_add_co_ci_u32_e32 v9, vcc_lo, 0, v7, vcc_lo
	v_add_co_u32 v5, vcc_lo, v1, v6
	v_or_b32_e32 v12, 0x1400, v18
	v_add_co_ci_u32_e32 v6, vcc_lo, 0, v7, vcc_lo
	v_add_co_u32 v10, vcc_lo, v1, v4
	v_add_co_ci_u32_e32 v11, vcc_lo, 0, v7, vcc_lo
	v_add_co_u32 v12, vcc_lo, v1, v12
	v_add_nc_u32_e32 v4, 0, v17
	v_add_co_ci_u32_e32 v13, vcc_lo, 0, v7, vcc_lo
	ds_read_b32 v20, v4
	s_waitcnt lgkmcnt(2)
	global_store_dword v[8:9], v14, off
	global_store_dword v[5:6], v16, off
	s_waitcnt lgkmcnt(1)
	global_store_dword v[10:11], v2, off
	v_or_b32_e32 v4, 0x1600, v18
	global_store_dword v[12:13], v3, off
	ds_read2st64_b32 v[2:3], v19 offset0:22 offset1:24
	ds_read2st64_b32 v[8:9], v19 offset0:26 offset1:28
	v_or_b32_e32 v6, 0x1800, v18
	v_add_co_u32 v4, vcc_lo, v1, v4
	v_or_b32_e32 v12, 0x1a00, v18
	v_add_co_ci_u32_e32 v5, vcc_lo, 0, v7, vcc_lo
	v_add_co_u32 v10, vcc_lo, v1, v6
	v_or_b32_e32 v6, 0x1c00, v18
	v_add_co_ci_u32_e32 v11, vcc_lo, 0, v7, vcc_lo
	v_add_co_u32 v12, vcc_lo, v1, v12
	v_add_co_ci_u32_e32 v13, vcc_lo, 0, v7, vcc_lo
	v_add_co_u32 v14, vcc_lo, v1, v6
	;; [unrolled: 2-line block ×3, first 2 shown]
	v_add_co_ci_u32_e32 v17, vcc_lo, 0, v7, vcc_lo
	v_or_b32_e32 v6, 0x2000, v18
	s_waitcnt lgkmcnt(1)
	global_store_dword v[4:5], v2, off
	global_store_dword v[10:11], v3, off
	s_waitcnt lgkmcnt(0)
	global_store_dword v[12:13], v8, off
	global_store_dword v[14:15], v9, off
	;; [unrolled: 1-line block ×3, first 2 shown]
	ds_read2st64_b32 v[2:3], v19 offset0:32 offset1:34
	v_or_b32_e32 v10, 0x2200, v18
	ds_read2st64_b32 v[4:5], v19 offset0:36 offset1:38
	v_add_co_u32 v8, vcc_lo, v1, v6
	v_or_b32_e32 v6, 0x2400, v18
	v_add_co_ci_u32_e32 v9, vcc_lo, 0, v7, vcc_lo
	v_add_co_u32 v10, vcc_lo, v1, v10
	v_or_b32_e32 v14, 0x2600, v18
	v_add_co_ci_u32_e32 v11, vcc_lo, 0, v7, vcc_lo
	v_add_co_u32 v12, vcc_lo, v1, v6
	v_add_co_ci_u32_e32 v13, vcc_lo, 0, v7, vcc_lo
	v_add_co_u32 v14, vcc_lo, v1, v14
	v_add_co_ci_u32_e32 v15, vcc_lo, 0, v7, vcc_lo
	v_cmp_eq_u32_e32 vcc_lo, 0x7f, v0
	s_waitcnt lgkmcnt(1)
	global_store_dword v[8:9], v2, off
	global_store_dword v[10:11], v3, off
	s_waitcnt lgkmcnt(0)
	global_store_dword v[12:13], v4, off
	global_store_dword v[14:15], v5, off
	s_and_b32 exec_lo, exec_lo, vcc_lo
	s_cbranch_execz .LBB0_20
; %bb.19:
	v_mov_b32_e32 v0, 0
	ds_read_b32 v2, v0 offset:10240
	v_add_co_u32 v0, vcc_lo, 0x2800, v1
	v_add_co_ci_u32_e32 v1, vcc_lo, 0, v7, vcc_lo
	s_waitcnt lgkmcnt(0)
	global_store_dword v[0:1], v2, off
.LBB0_20:
	s_endpgm
	.section	.rodata,"a",@progbits
	.p2align	6, 0x0
	.amdhsa_kernel fft_rtc_back_len2560_factors_4_4_4_10_4_wgs_128_tpt_128_halfLds_half_ip_CI_unitstride_sbrr_R2C_dirReg
		.amdhsa_group_segment_fixed_size 0
		.amdhsa_private_segment_fixed_size 0
		.amdhsa_kernarg_size 88
		.amdhsa_user_sgpr_count 6
		.amdhsa_user_sgpr_private_segment_buffer 1
		.amdhsa_user_sgpr_dispatch_ptr 0
		.amdhsa_user_sgpr_queue_ptr 0
		.amdhsa_user_sgpr_kernarg_segment_ptr 1
		.amdhsa_user_sgpr_dispatch_id 0
		.amdhsa_user_sgpr_flat_scratch_init 0
		.amdhsa_user_sgpr_private_segment_size 0
		.amdhsa_wavefront_size32 1
		.amdhsa_uses_dynamic_stack 0
		.amdhsa_system_sgpr_private_segment_wavefront_offset 0
		.amdhsa_system_sgpr_workgroup_id_x 1
		.amdhsa_system_sgpr_workgroup_id_y 0
		.amdhsa_system_sgpr_workgroup_id_z 0
		.amdhsa_system_sgpr_workgroup_info 0
		.amdhsa_system_vgpr_workitem_id 0
		.amdhsa_next_free_vgpr 106
		.amdhsa_next_free_sgpr 21
		.amdhsa_reserve_vcc 1
		.amdhsa_reserve_flat_scratch 0
		.amdhsa_float_round_mode_32 0
		.amdhsa_float_round_mode_16_64 0
		.amdhsa_float_denorm_mode_32 3
		.amdhsa_float_denorm_mode_16_64 3
		.amdhsa_dx10_clamp 1
		.amdhsa_ieee_mode 1
		.amdhsa_fp16_overflow 0
		.amdhsa_workgroup_processor_mode 1
		.amdhsa_memory_ordered 1
		.amdhsa_forward_progress 0
		.amdhsa_shared_vgpr_count 0
		.amdhsa_exception_fp_ieee_invalid_op 0
		.amdhsa_exception_fp_denorm_src 0
		.amdhsa_exception_fp_ieee_div_zero 0
		.amdhsa_exception_fp_ieee_overflow 0
		.amdhsa_exception_fp_ieee_underflow 0
		.amdhsa_exception_fp_ieee_inexact 0
		.amdhsa_exception_int_div_zero 0
	.end_amdhsa_kernel
	.text
.Lfunc_end0:
	.size	fft_rtc_back_len2560_factors_4_4_4_10_4_wgs_128_tpt_128_halfLds_half_ip_CI_unitstride_sbrr_R2C_dirReg, .Lfunc_end0-fft_rtc_back_len2560_factors_4_4_4_10_4_wgs_128_tpt_128_halfLds_half_ip_CI_unitstride_sbrr_R2C_dirReg
                                        ; -- End function
	.section	.AMDGPU.csdata,"",@progbits
; Kernel info:
; codeLenInByte = 13072
; NumSgprs: 23
; NumVgprs: 106
; ScratchSize: 0
; MemoryBound: 0
; FloatMode: 240
; IeeeMode: 1
; LDSByteSize: 0 bytes/workgroup (compile time only)
; SGPRBlocks: 2
; VGPRBlocks: 13
; NumSGPRsForWavesPerEU: 23
; NumVGPRsForWavesPerEU: 106
; Occupancy: 9
; WaveLimiterHint : 1
; COMPUTE_PGM_RSRC2:SCRATCH_EN: 0
; COMPUTE_PGM_RSRC2:USER_SGPR: 6
; COMPUTE_PGM_RSRC2:TRAP_HANDLER: 0
; COMPUTE_PGM_RSRC2:TGID_X_EN: 1
; COMPUTE_PGM_RSRC2:TGID_Y_EN: 0
; COMPUTE_PGM_RSRC2:TGID_Z_EN: 0
; COMPUTE_PGM_RSRC2:TIDIG_COMP_CNT: 0
	.text
	.p2alignl 6, 3214868480
	.fill 48, 4, 3214868480
	.type	__hip_cuid_7726ef490415a9cd,@object ; @__hip_cuid_7726ef490415a9cd
	.section	.bss,"aw",@nobits
	.globl	__hip_cuid_7726ef490415a9cd
__hip_cuid_7726ef490415a9cd:
	.byte	0                               ; 0x0
	.size	__hip_cuid_7726ef490415a9cd, 1

	.ident	"AMD clang version 19.0.0git (https://github.com/RadeonOpenCompute/llvm-project roc-6.4.0 25133 c7fe45cf4b819c5991fe208aaa96edf142730f1d)"
	.section	".note.GNU-stack","",@progbits
	.addrsig
	.addrsig_sym __hip_cuid_7726ef490415a9cd
	.amdgpu_metadata
---
amdhsa.kernels:
  - .args:
      - .actual_access:  read_only
        .address_space:  global
        .offset:         0
        .size:           8
        .value_kind:     global_buffer
      - .offset:         8
        .size:           8
        .value_kind:     by_value
      - .actual_access:  read_only
        .address_space:  global
        .offset:         16
        .size:           8
        .value_kind:     global_buffer
      - .actual_access:  read_only
        .address_space:  global
        .offset:         24
        .size:           8
        .value_kind:     global_buffer
      - .offset:         32
        .size:           8
        .value_kind:     by_value
      - .actual_access:  read_only
        .address_space:  global
        .offset:         40
        .size:           8
        .value_kind:     global_buffer
      - .actual_access:  read_only
        .address_space:  global
        .offset:         48
        .size:           8
        .value_kind:     global_buffer
      - .offset:         56
        .size:           4
        .value_kind:     by_value
      - .actual_access:  read_only
        .address_space:  global
        .offset:         64
        .size:           8
        .value_kind:     global_buffer
      - .actual_access:  read_only
        .address_space:  global
        .offset:         72
        .size:           8
        .value_kind:     global_buffer
      - .address_space:  global
        .offset:         80
        .size:           8
        .value_kind:     global_buffer
    .group_segment_fixed_size: 0
    .kernarg_segment_align: 8
    .kernarg_segment_size: 88
    .language:       OpenCL C
    .language_version:
      - 2
      - 0
    .max_flat_workgroup_size: 128
    .name:           fft_rtc_back_len2560_factors_4_4_4_10_4_wgs_128_tpt_128_halfLds_half_ip_CI_unitstride_sbrr_R2C_dirReg
    .private_segment_fixed_size: 0
    .sgpr_count:     23
    .sgpr_spill_count: 0
    .symbol:         fft_rtc_back_len2560_factors_4_4_4_10_4_wgs_128_tpt_128_halfLds_half_ip_CI_unitstride_sbrr_R2C_dirReg.kd
    .uniform_work_group_size: 1
    .uses_dynamic_stack: false
    .vgpr_count:     106
    .vgpr_spill_count: 0
    .wavefront_size: 32
    .workgroup_processor_mode: 1
amdhsa.target:   amdgcn-amd-amdhsa--gfx1030
amdhsa.version:
  - 1
  - 2
...

	.end_amdgpu_metadata
